;; amdgpu-corpus repo=zjin-lcf/HeCBench kind=compiled arch=gfx1250 opt=O3
	.amdgcn_target "amdgcn-amd-amdhsa--gfx1250"
	.amdhsa_code_object_version 6
	.text
	.protected	_Z11pnpoly_basePiPK15HIP_vector_typeIfLj2EES3_i ; -- Begin function _Z11pnpoly_basePiPK15HIP_vector_typeIfLj2EES3_i
	.globl	_Z11pnpoly_basePiPK15HIP_vector_typeIfLj2EES3_i
	.p2align	8
	.type	_Z11pnpoly_basePiPK15HIP_vector_typeIfLj2EES3_i,@function
_Z11pnpoly_basePiPK15HIP_vector_typeIfLj2EES3_i: ; @_Z11pnpoly_basePiPK15HIP_vector_typeIfLj2EES3_i
; %bb.0:
	s_clause 0x1
	s_load_b32 s2, s[0:1], 0x2c
	s_load_b32 s3, s[0:1], 0x18
	s_bfe_u32 s4, ttmp6, 0x4000c
	s_and_b32 s5, ttmp6, 15
	s_add_co_i32 s4, s4, 1
	s_getreg_b32 s6, hwreg(HW_REG_IB_STS2, 6, 4)
	s_mul_i32 s4, ttmp9, s4
	s_delay_alu instid0(SALU_CYCLE_1) | instskip(SKIP_4) | instid1(SALU_CYCLE_1)
	s_add_co_i32 s5, s5, s4
	s_wait_kmcnt 0x0
	s_and_b32 s2, s2, 0xffff
	s_cmp_eq_u32 s6, 0
	s_cselect_b32 s4, ttmp9, s5
	v_mad_u32 v0, s4, s2, v0
	s_delay_alu instid0(VALU_DEP_1)
	v_cmp_gt_i32_e32 vcc_lo, s3, v0
	s_mov_b32 s3, 0
	s_and_saveexec_b32 s2, vcc_lo
	s_cbranch_execz .LBB0_16
; %bb.1:
	s_clause 0x1
	s_load_b128 s[4:7], s[0:1], 0x0
	s_load_b64 s[8:9], s[0:1], 0x10
	v_mov_b32_e32 v6, 0
	s_movk_i32 s2, 0x257
	s_wait_xcnt 0x0
	s_mov_b32 s1, s3
	s_wait_kmcnt 0x0
	global_load_b64 v[2:3], v0, s[6:7] scale_offset
	s_load_b32 s12, s[8:9], 0x12bc
	v_ashrrev_i32_e32 v1, 31, v0
	s_mov_b64 s[6:7], 0
	s_wait_loadcnt 0x0
	v_mov_b32_e32 v4, v3
	s_branch .LBB0_4
.LBB0_2:                                ;   in Loop: Header=BB0_4 Depth=1
	s_or_b32 exec_lo, exec_lo, s2
.LBB0_3:                                ;   in Loop: Header=BB0_4 Depth=1
	s_delay_alu instid0(SALU_CYCLE_1)
	s_or_b32 exec_lo, exec_lo, s0
	s_add_nc_u64 s[6:7], s[6:7], 24
	s_add_co_i32 s2, s1, 2
	s_add_co_i32 s1, s1, 3
	s_cmp_eq_u32 s6, 0x12c0
	s_cbranch_scc1 .LBB0_15
.LBB0_4:                                ; =>This Inner Loop Header: Depth=1
	s_add_nc_u64 s[10:11], s[8:9], s[6:7]
	s_wait_kmcnt 0x0
	v_cmp_ngt_f32_e64 s0, s12, v3
	s_load_b32 s14, s[10:11], 0x4
	s_wait_kmcnt 0x0
	v_cmp_gt_f32_e32 vcc_lo, s14, v3
	s_xor_b32 s0, vcc_lo, s0
	s_delay_alu instid0(SALU_CYCLE_1) | instskip(NEXT) | instid1(SALU_CYCLE_1)
	s_xor_b32 s13, s0, -1
	s_and_saveexec_b32 s0, s13
	s_cbranch_execz .LBB0_8
; %bb.5:                                ;   in Loop: Header=BB0_4 Depth=1
	s_lshl_b64 s[16:17], s[2:3], 3
	v_mov_b32_e32 v5, s12
	s_add_nc_u64 s[16:17], s[8:9], s[16:17]
	s_clause 0x1
	s_load_b32 s2, s[16:17], 0x0
	s_load_b32 s13, s[10:11], 0x0
	v_pk_add_f32 v[8:9], v[4:5], s[14:15] op_sel_hi:[1,0] neg_lo:[0,1] neg_hi:[0,1]
	s_wait_kmcnt 0x0
	s_sub_f32 s2, s2, s13
	s_delay_alu instid0(VALU_DEP_1) | instid1(SALU_CYCLE_3)
	v_div_scale_f32 v5, null, v9, v9, s2
	s_delay_alu instid0(VALU_DEP_1) | instskip(SKIP_1) | instid1(TRANS32_DEP_1)
	v_rcp_f32_e32 v7, v5
	v_nop
	v_fma_f32 v10, -v5, v7, 1.0
	s_delay_alu instid0(VALU_DEP_1) | instskip(SKIP_1) | instid1(VALU_DEP_1)
	v_fmac_f32_e32 v7, v10, v7
	v_div_scale_f32 v10, vcc_lo, s2, v9, s2
	v_mul_f32_e32 v11, v10, v7
	s_delay_alu instid0(VALU_DEP_1) | instskip(NEXT) | instid1(VALU_DEP_1)
	v_fma_f32 v12, -v5, v11, v10
	v_fmac_f32_e32 v11, v12, v7
	s_delay_alu instid0(VALU_DEP_1) | instskip(NEXT) | instid1(VALU_DEP_1)
	v_fma_f32 v5, -v5, v11, v10
	v_div_fmas_f32 v5, v5, v7, v11
	s_delay_alu instid0(VALU_DEP_1) | instskip(SKIP_1) | instid1(VALU_DEP_1)
	v_div_fixup_f32 v5, v5, v9, s2
	s_mov_b32 s2, exec_lo
	v_fma_f32 v5, v8, v5, s13
	s_delay_alu instid0(VALU_DEP_1)
	v_cmpx_lt_f32_e32 v2, v5
; %bb.6:                                ;   in Loop: Header=BB0_4 Depth=1
	v_cmp_eq_u32_e32 vcc_lo, 0, v6
	v_cndmask_b32_e64 v6, 0, 1, vcc_lo
; %bb.7:                                ;   in Loop: Header=BB0_4 Depth=1
	s_or_b32 exec_lo, exec_lo, s2
.LBB0_8:                                ;   in Loop: Header=BB0_4 Depth=1
	s_delay_alu instid0(SALU_CYCLE_1)
	s_or_b32 exec_lo, exec_lo, s0
	s_load_b32 s2, s[10:11], 0xc
	v_cmp_ngt_f32_e64 s0, s14, v3
	s_wait_kmcnt 0x0
	v_cmp_gt_f32_e32 vcc_lo, s2, v3
	s_xor_b32 s0, vcc_lo, s0
	s_delay_alu instid0(SALU_CYCLE_1) | instskip(NEXT) | instid1(SALU_CYCLE_1)
	s_xor_b32 s12, s0, -1
	s_and_saveexec_b32 s0, s12
	s_cbranch_execz .LBB0_12
; %bb.9:                                ;   in Loop: Header=BB0_4 Depth=1
	s_clause 0x1
	s_load_b32 s12, s[10:11], 0x0
	s_load_b32 s13, s[10:11], 0x8
	v_mov_b32_e32 v5, s14
	s_delay_alu instid0(VALU_DEP_1)
	v_pk_add_f32 v[8:9], v[4:5], s[2:3] op_sel_hi:[1,0] neg_lo:[0,1] neg_hi:[0,1]
	s_wait_kmcnt 0x0
	s_sub_f32 s12, s12, s13
	s_delay_alu instid0(VALU_DEP_1) | instid1(SALU_CYCLE_3)
	v_div_scale_f32 v5, null, v9, v9, s12
	s_delay_alu instid0(VALU_DEP_1) | instskip(SKIP_1) | instid1(TRANS32_DEP_1)
	v_rcp_f32_e32 v7, v5
	v_nop
	v_fma_f32 v10, -v5, v7, 1.0
	s_delay_alu instid0(VALU_DEP_1) | instskip(SKIP_1) | instid1(VALU_DEP_1)
	v_fmac_f32_e32 v7, v10, v7
	v_div_scale_f32 v10, vcc_lo, s12, v9, s12
	v_mul_f32_e32 v11, v10, v7
	s_delay_alu instid0(VALU_DEP_1) | instskip(NEXT) | instid1(VALU_DEP_1)
	v_fma_f32 v12, -v5, v11, v10
	v_fmac_f32_e32 v11, v12, v7
	s_delay_alu instid0(VALU_DEP_1) | instskip(NEXT) | instid1(VALU_DEP_1)
	v_fma_f32 v5, -v5, v11, v10
	v_div_fmas_f32 v5, v5, v7, v11
	s_delay_alu instid0(VALU_DEP_1) | instskip(SKIP_1) | instid1(VALU_DEP_1)
	v_div_fixup_f32 v5, v5, v9, s12
	s_mov_b32 s12, exec_lo
	v_fma_f32 v5, v8, v5, s13
	s_delay_alu instid0(VALU_DEP_1)
	v_cmpx_lt_f32_e32 v2, v5
; %bb.10:                               ;   in Loop: Header=BB0_4 Depth=1
	v_cmp_eq_u32_e32 vcc_lo, 0, v6
	v_cndmask_b32_e64 v6, 0, 1, vcc_lo
; %bb.11:                               ;   in Loop: Header=BB0_4 Depth=1
	s_or_b32 exec_lo, exec_lo, s12
.LBB0_12:                               ;   in Loop: Header=BB0_4 Depth=1
	s_delay_alu instid0(SALU_CYCLE_1)
	s_or_b32 exec_lo, exec_lo, s0
	s_load_b32 s12, s[10:11], 0x14
	v_cmp_ngt_f32_e64 s0, s2, v3
	s_wait_kmcnt 0x0
	v_cmp_gt_f32_e32 vcc_lo, s12, v3
	s_xor_b32 s0, vcc_lo, s0
	s_delay_alu instid0(SALU_CYCLE_1) | instskip(NEXT) | instid1(SALU_CYCLE_1)
	s_xor_b32 s13, s0, -1
	s_and_saveexec_b32 s0, s13
	s_cbranch_execz .LBB0_3
; %bb.13:                               ;   in Loop: Header=BB0_4 Depth=1
	s_clause 0x1
	s_load_b32 s13, s[10:11], 0x8
	s_load_b32 s14, s[10:11], 0x10
	v_mov_b32_e32 v5, s2
	s_wait_kmcnt 0x0
	s_delay_alu instid0(VALU_DEP_1)
	v_pk_add_f32 v[8:9], v[4:5], s[12:13] op_sel_hi:[1,0] neg_lo:[0,1] neg_hi:[0,1]
	s_sub_f32 s2, s13, s14
	s_delay_alu instid0(VALU_DEP_1) | instid1(SALU_CYCLE_3)
	v_div_scale_f32 v5, null, v9, v9, s2
	s_delay_alu instid0(VALU_DEP_1) | instskip(SKIP_1) | instid1(TRANS32_DEP_1)
	v_rcp_f32_e32 v7, v5
	v_nop
	v_fma_f32 v10, -v5, v7, 1.0
	s_delay_alu instid0(VALU_DEP_1) | instskip(SKIP_1) | instid1(VALU_DEP_1)
	v_fmac_f32_e32 v7, v10, v7
	v_div_scale_f32 v10, vcc_lo, s2, v9, s2
	v_mul_f32_e32 v11, v10, v7
	s_delay_alu instid0(VALU_DEP_1) | instskip(NEXT) | instid1(VALU_DEP_1)
	v_fma_f32 v12, -v5, v11, v10
	v_fmac_f32_e32 v11, v12, v7
	s_delay_alu instid0(VALU_DEP_1) | instskip(NEXT) | instid1(VALU_DEP_1)
	v_fma_f32 v5, -v5, v11, v10
	v_div_fmas_f32 v5, v5, v7, v11
	s_delay_alu instid0(VALU_DEP_1) | instskip(SKIP_1) | instid1(VALU_DEP_1)
	v_div_fixup_f32 v5, v5, v9, s2
	s_mov_b32 s2, exec_lo
	v_fma_f32 v5, v8, v5, s14
	s_delay_alu instid0(VALU_DEP_1)
	v_cmpx_lt_f32_e32 v2, v5
	s_cbranch_execz .LBB0_2
; %bb.14:                               ;   in Loop: Header=BB0_4 Depth=1
	v_cmp_eq_u32_e32 vcc_lo, 0, v6
	v_cndmask_b32_e64 v6, 0, 1, vcc_lo
	s_branch .LBB0_2
.LBB0_15:
	v_lshl_add_u64 v[0:1], v[0:1], 2, s[4:5]
	global_store_b32 v[0:1], v6, off
.LBB0_16:
	s_endpgm
	.section	.rodata,"a",@progbits
	.p2align	6, 0x0
	.amdhsa_kernel _Z11pnpoly_basePiPK15HIP_vector_typeIfLj2EES3_i
		.amdhsa_group_segment_fixed_size 0
		.amdhsa_private_segment_fixed_size 0
		.amdhsa_kernarg_size 288
		.amdhsa_user_sgpr_count 2
		.amdhsa_user_sgpr_dispatch_ptr 0
		.amdhsa_user_sgpr_queue_ptr 0
		.amdhsa_user_sgpr_kernarg_segment_ptr 1
		.amdhsa_user_sgpr_dispatch_id 0
		.amdhsa_user_sgpr_kernarg_preload_length 0
		.amdhsa_user_sgpr_kernarg_preload_offset 0
		.amdhsa_user_sgpr_private_segment_size 0
		.amdhsa_wavefront_size32 1
		.amdhsa_uses_dynamic_stack 0
		.amdhsa_enable_private_segment 0
		.amdhsa_system_sgpr_workgroup_id_x 1
		.amdhsa_system_sgpr_workgroup_id_y 0
		.amdhsa_system_sgpr_workgroup_id_z 0
		.amdhsa_system_sgpr_workgroup_info 0
		.amdhsa_system_vgpr_workitem_id 0
		.amdhsa_next_free_vgpr 13
		.amdhsa_next_free_sgpr 18
		.amdhsa_named_barrier_count 0
		.amdhsa_reserve_vcc 1
		.amdhsa_float_round_mode_32 0
		.amdhsa_float_round_mode_16_64 0
		.amdhsa_float_denorm_mode_32 3
		.amdhsa_float_denorm_mode_16_64 3
		.amdhsa_fp16_overflow 0
		.amdhsa_memory_ordered 1
		.amdhsa_forward_progress 1
		.amdhsa_inst_pref_size 8
		.amdhsa_round_robin_scheduling 0
		.amdhsa_exception_fp_ieee_invalid_op 0
		.amdhsa_exception_fp_denorm_src 0
		.amdhsa_exception_fp_ieee_div_zero 0
		.amdhsa_exception_fp_ieee_overflow 0
		.amdhsa_exception_fp_ieee_underflow 0
		.amdhsa_exception_fp_ieee_inexact 0
		.amdhsa_exception_int_div_zero 0
	.end_amdhsa_kernel
	.text
.Lfunc_end0:
	.size	_Z11pnpoly_basePiPK15HIP_vector_typeIfLj2EES3_i, .Lfunc_end0-_Z11pnpoly_basePiPK15HIP_vector_typeIfLj2EES3_i
                                        ; -- End function
	.set _Z11pnpoly_basePiPK15HIP_vector_typeIfLj2EES3_i.num_vgpr, 13
	.set _Z11pnpoly_basePiPK15HIP_vector_typeIfLj2EES3_i.num_agpr, 0
	.set _Z11pnpoly_basePiPK15HIP_vector_typeIfLj2EES3_i.numbered_sgpr, 18
	.set _Z11pnpoly_basePiPK15HIP_vector_typeIfLj2EES3_i.num_named_barrier, 0
	.set _Z11pnpoly_basePiPK15HIP_vector_typeIfLj2EES3_i.private_seg_size, 0
	.set _Z11pnpoly_basePiPK15HIP_vector_typeIfLj2EES3_i.uses_vcc, 1
	.set _Z11pnpoly_basePiPK15HIP_vector_typeIfLj2EES3_i.uses_flat_scratch, 0
	.set _Z11pnpoly_basePiPK15HIP_vector_typeIfLj2EES3_i.has_dyn_sized_stack, 0
	.set _Z11pnpoly_basePiPK15HIP_vector_typeIfLj2EES3_i.has_recursion, 0
	.set _Z11pnpoly_basePiPK15HIP_vector_typeIfLj2EES3_i.has_indirect_call, 0
	.section	.AMDGPU.csdata,"",@progbits
; Kernel info:
; codeLenInByte = 944
; TotalNumSgprs: 20
; NumVgprs: 13
; ScratchSize: 0
; MemoryBound: 0
; FloatMode: 240
; IeeeMode: 1
; LDSByteSize: 0 bytes/workgroup (compile time only)
; SGPRBlocks: 0
; VGPRBlocks: 0
; NumSGPRsForWavesPerEU: 20
; NumVGPRsForWavesPerEU: 13
; NamedBarCnt: 0
; Occupancy: 16
; WaveLimiterHint : 0
; COMPUTE_PGM_RSRC2:SCRATCH_EN: 0
; COMPUTE_PGM_RSRC2:USER_SGPR: 2
; COMPUTE_PGM_RSRC2:TRAP_HANDLER: 0
; COMPUTE_PGM_RSRC2:TGID_X_EN: 1
; COMPUTE_PGM_RSRC2:TGID_Y_EN: 0
; COMPUTE_PGM_RSRC2:TGID_Z_EN: 0
; COMPUTE_PGM_RSRC2:TIDIG_COMP_CNT: 0
	.section	.text._Z10pnpoly_optILi1EEvPiPK15HIP_vector_typeIfLj2EES4_i,"axG",@progbits,_Z10pnpoly_optILi1EEvPiPK15HIP_vector_typeIfLj2EES4_i,comdat
	.protected	_Z10pnpoly_optILi1EEvPiPK15HIP_vector_typeIfLj2EES4_i ; -- Begin function _Z10pnpoly_optILi1EEvPiPK15HIP_vector_typeIfLj2EES4_i
	.globl	_Z10pnpoly_optILi1EEvPiPK15HIP_vector_typeIfLj2EES4_i
	.p2align	8
	.type	_Z10pnpoly_optILi1EEvPiPK15HIP_vector_typeIfLj2EES4_i,@function
_Z10pnpoly_optILi1EEvPiPK15HIP_vector_typeIfLj2EES4_i: ; @_Z10pnpoly_optILi1EEvPiPK15HIP_vector_typeIfLj2EES4_i
; %bb.0:
	s_load_b32 s2, s[0:1], 0x18
	s_bfe_u32 s3, ttmp6, 0x4000c
	s_and_b32 s4, ttmp6, 15
	s_add_co_i32 s3, s3, 1
	s_getreg_b32 s5, hwreg(HW_REG_IB_STS2, 6, 4)
	s_mul_i32 s3, ttmp9, s3
	s_mov_b32 s12, 1
	s_add_co_i32 s4, s4, s3
	s_cmp_eq_u32 s5, 0
	s_mov_b32 s15, 0
	s_cselect_b32 s3, ttmp9, s4
	s_delay_alu instid0(SALU_CYCLE_1) | instskip(SKIP_1) | instid1(VALU_DEP_1)
	v_lshl_add_u32 v0, s3, 8, v0
	s_wait_kmcnt 0x0
	v_cmp_gt_i32_e32 vcc_lo, s2, v0
	s_and_saveexec_b32 s2, vcc_lo
	s_cbranch_execz .LBB1_4
; %bb.1:
	s_clause 0x1
	s_load_b128 s[8:11], s[0:1], 0x0
	s_load_b64 s[16:17], s[0:1], 0x10
	v_dual_mov_b32 v10, 0 :: v_dual_ashrrev_i32 v1, 31, v0
	s_movk_i32 s7, 0x258
	s_mov_b32 s14, s15
	v_mov_b32_e32 v11, 0
	s_wait_kmcnt 0x0
	global_load_b64 v[2:3], v0, s[10:11] scale_offset
	s_wait_xcnt 0x0
	s_load_b64 s[10:11], s[16:17], 0x12b8
	s_wait_loadcnt 0x0
	v_dual_mov_b32 v4, v2 :: v_dual_mov_b32 v5, v2
	v_mov_b32_e32 v2, v3
.LBB1_2:                                ; =>This Inner Loop Header: Depth=1
	s_lshl_b64 s[0:1], s[14:15], 3
	s_mov_b32 s13, s15
	s_add_co_i32 s4, s14, 2
	s_mov_b32 s5, s15
	s_wait_kmcnt 0x0
	v_dual_mov_b32 v6, s10 :: v_dual_mov_b32 v8, s11
	v_cmp_gt_f32_e32 vcc_lo, s11, v2
	s_add_co_i32 s2, s12, 2
	s_mov_b32 s3, s15
	s_add_nc_u64 s[0:1], s[16:17], s[0:1]
	s_lshl_b64 s[10:11], s[12:13], 3
	s_lshl_b64 s[4:5], s[4:5], 3
	;; [unrolled: 1-line block ×3, first 2 shown]
	s_load_b64 s[0:1], s[0:1], 0x0
	s_add_nc_u64 s[18:19], s[16:17], s[10:11]
	s_add_nc_u64 s[4:5], s[16:17], s[4:5]
	;; [unrolled: 1-line block ×3, first 2 shown]
	s_clause 0x2
	s_load_b64 s[20:21], s[18:19], 0x0
	s_load_b64 s[22:23], s[4:5], 0x0
	;; [unrolled: 1-line block ×3, first 2 shown]
	s_add_co_i32 s7, s7, -4
	s_add_co_i32 s14, s14, 4
	s_add_co_i32 s12, s12, 4
	s_wait_kmcnt 0x0
	s_mov_b32 s18, s0
	s_mov_b32 s24, s1
	;; [unrolled: 1-line block ×4, first 2 shown]
	v_mov_b64_e32 v[16:17], s[18:19]
	v_mov_b64_e32 v[18:19], s[24:25]
	v_dual_mov_b32 v7, s0 :: v_dual_mov_b32 v9, s1
	s_mov_b32 s26, s22
	s_mov_b32 s27, s10
	;; [unrolled: 1-line block ×4, first 2 shown]
	v_mov_b64_e32 v[20:21], s[26:27]
	v_mov_b64_e32 v[22:23], s[28:29]
	v_dual_mov_b32 v12, s20 :: v_dual_mov_b32 v13, s22
	v_dual_mov_b32 v14, s21 :: v_dual_mov_b32 v15, s23
	v_pk_add_f32 v[6:7], v[6:7], v[16:17] neg_lo:[0,1] neg_hi:[0,1]
	v_pk_add_f32 v[8:9], v[8:9], v[18:19] neg_lo:[0,1] neg_hi:[0,1]
	s_delay_alu instid0(VALU_DEP_4)
	v_pk_add_f32 v[12:13], v[12:13], v[20:21] neg_lo:[0,1] neg_hi:[0,1]
	v_cmp_gt_f32_e64 s0, s1, v2
	v_pk_add_f32 v[14:15], v[14:15], v[22:23] neg_lo:[0,1] neg_hi:[0,1]
	v_cmp_gt_f32_e64 s1, s1, v3
	v_div_scale_f32 v24, null, v9, v9, v7
	v_div_scale_f32 v26, null, v8, v8, v6
	s_delay_alu instid0(VALU_DEP_4) | instskip(NEXT) | instid1(VALU_DEP_3)
	v_div_scale_f32 v28, null, v15, v15, v13
	v_xor_b32_e32 v32, 0x80000000, v24
	v_rcp_f32_e32 v24, v24
	v_div_scale_f32 v30, null, v14, v14, v12
	v_xor_b32_e32 v33, 0x80000000, v26
	v_rcp_f32_e32 v26, v26
	v_rcp_f32_e32 v34, v28
	s_delay_alu instid0(VALU_DEP_2)
	v_rcp_f32_e32 v35, v30
	v_xor_b32_e32 v28, 0x80000000, v28
	v_fma_f32 v36, v32, v24, 1.0
	v_xor_b32_e32 v30, 0x80000000, v30
	v_cmp_gt_f32_e64 s2, s21, v3
	v_fma_f32 v37, v33, v26, 1.0
	v_fma_f32 v38, v28, v34, 1.0
	s_xor_b32 s13, s0, vcc_lo
	v_div_scale_f32 v25, vcc_lo, v7, v9, v7
	s_delay_alu instid0(VALU_DEP_3)
	v_dual_fmac_f32 v24, v36, v24 :: v_dual_fmac_f32 v26, v37, v26
	v_fma_f32 v39, v30, v35, 1.0
	v_div_scale_f32 v27, s0, v6, v8, v6
	s_xor_b32 s18, s2, s1
	v_div_scale_f32 v29, s1, v13, v15, v13
	v_dual_fmac_f32 v34, v38, v34 :: v_dual_fmac_f32 v35, v39, v35
	v_dual_mul_f32 v36, v25, v24 :: v_dual_mul_f32 v37, v27, v26
	v_div_scale_f32 v31, s2, v12, v14, v12
	s_delay_alu instid0(VALU_DEP_2) | instskip(NEXT) | instid1(VALU_DEP_2)
	v_dual_mul_f32 v38, v29, v34 :: v_dual_fma_f32 v40, v32, v36, v25
	v_dual_fma_f32 v41, v33, v37, v27 :: v_dual_mul_f32 v39, v31, v35
	v_pk_add_f32 v[18:19], v[2:3], v[18:19] neg_lo:[0,1] neg_hi:[0,1]
	s_delay_alu instid0(VALU_DEP_3) | instskip(NEXT) | instid1(VALU_DEP_3)
	v_fma_f32 v42, v28, v38, v29
	v_dual_fmac_f32 v36, v40, v24 :: v_dual_fmac_f32 v37, v41, v26
	s_delay_alu instid0(VALU_DEP_4) | instskip(SKIP_1) | instid1(VALU_DEP_3)
	v_fma_f32 v43, v30, v39, v31
	v_pk_add_f32 v[22:23], v[2:3], v[22:23] neg_lo:[0,1] neg_hi:[0,1]
	v_dual_fmac_f32 v38, v42, v34 :: v_dual_fmac_f32 v25, v32, v36
	s_delay_alu instid0(VALU_DEP_4) | instskip(NEXT) | instid1(VALU_DEP_4)
	v_fmac_f32_e32 v27, v33, v37
	v_fmac_f32_e32 v39, v43, v35
	v_cmp_gt_f32_e64 s3, s23, v2
	s_delay_alu instid0(VALU_DEP_4)
	v_fmac_f32_e32 v29, v28, v38
	v_div_fmas_f32 v24, v25, v24, v36
	s_mov_b32 vcc_lo, s0
	v_fmac_f32_e32 v31, v30, v39
	v_div_fmas_f32 v25, v27, v26, v37
	s_mov_b32 vcc_lo, s1
	v_div_fixup_f32 v7, v24, v9, v7
	v_div_fmas_f32 v26, v29, v34, v38
	s_mov_b32 vcc_lo, s2
	v_div_fixup_f32 v6, v25, v8, v6
	v_div_fmas_f32 v24, v31, v35, v39
	v_cmp_gt_f32_e64 s5, s21, v2
	v_div_fixup_f32 v9, v26, v15, v13
	v_cmp_gt_f32_e64 s4, s11, v3
	v_pk_fma_f32 v[6:7], v[18:19], v[6:7], v[16:17]
	v_div_fixup_f32 v8, v24, v14, v12
	v_cmp_gt_f32_e64 s6, s23, v3
	s_xor_b32 s3, s3, s5
	v_cmp_lt_f32_e32 vcc_lo, v5, v7
	v_pk_fma_f32 v[8:9], v[22:23], v[8:9], v[20:21]
	v_cmp_lt_f32_e64 s0, v4, v6
	s_xor_b32 s4, s4, s6
	s_and_b32 s5, s18, vcc_lo
	v_cmp_lt_f32_e64 s1, v5, v9
	v_cmp_lt_f32_e64 s2, v4, v8
	s_and_b32 s0, s13, s0
	v_cndmask_b32_e64 v6, 0, 1, s5
	v_cndmask_b32_e64 v7, 0, 1, s0
	s_and_b32 s0, s4, s1
	s_delay_alu instid0(SALU_CYCLE_1)
	v_cndmask_b32_e64 v8, 0, 1, s0
	s_and_b32 s0, s3, s2
	v_xor_b32_e32 v6, v11, v6
	v_cndmask_b32_e64 v9, 0, 1, s0
	v_xor_b32_e32 v7, v10, v7
	s_cmp_lg_u32 s7, 0
	s_delay_alu instid0(VALU_DEP_3) | instskip(NEXT) | instid1(VALU_DEP_2)
	v_xor_b32_e32 v11, v6, v8
	v_xor_b32_e32 v10, v7, v9
	s_cbranch_scc1 .LBB1_2
; %bb.3:
	s_delay_alu instid0(VALU_DEP_1)
	v_xor_b32_e32 v2, v10, v11
	v_lshl_add_u64 v[0:1], v[0:1], 2, s[8:9]
	global_store_b32 v[0:1], v2, off
.LBB1_4:
	s_endpgm
	.section	.rodata,"a",@progbits
	.p2align	6, 0x0
	.amdhsa_kernel _Z10pnpoly_optILi1EEvPiPK15HIP_vector_typeIfLj2EES4_i
		.amdhsa_group_segment_fixed_size 0
		.amdhsa_private_segment_fixed_size 0
		.amdhsa_kernarg_size 28
		.amdhsa_user_sgpr_count 2
		.amdhsa_user_sgpr_dispatch_ptr 0
		.amdhsa_user_sgpr_queue_ptr 0
		.amdhsa_user_sgpr_kernarg_segment_ptr 1
		.amdhsa_user_sgpr_dispatch_id 0
		.amdhsa_user_sgpr_kernarg_preload_length 0
		.amdhsa_user_sgpr_kernarg_preload_offset 0
		.amdhsa_user_sgpr_private_segment_size 0
		.amdhsa_wavefront_size32 1
		.amdhsa_uses_dynamic_stack 0
		.amdhsa_enable_private_segment 0
		.amdhsa_system_sgpr_workgroup_id_x 1
		.amdhsa_system_sgpr_workgroup_id_y 0
		.amdhsa_system_sgpr_workgroup_id_z 0
		.amdhsa_system_sgpr_workgroup_info 0
		.amdhsa_system_vgpr_workitem_id 0
		.amdhsa_next_free_vgpr 44
		.amdhsa_next_free_sgpr 30
		.amdhsa_named_barrier_count 0
		.amdhsa_reserve_vcc 1
		.amdhsa_float_round_mode_32 0
		.amdhsa_float_round_mode_16_64 0
		.amdhsa_float_denorm_mode_32 3
		.amdhsa_float_denorm_mode_16_64 3
		.amdhsa_fp16_overflow 0
		.amdhsa_memory_ordered 1
		.amdhsa_forward_progress 1
		.amdhsa_inst_pref_size 8
		.amdhsa_round_robin_scheduling 0
		.amdhsa_exception_fp_ieee_invalid_op 0
		.amdhsa_exception_fp_denorm_src 0
		.amdhsa_exception_fp_ieee_div_zero 0
		.amdhsa_exception_fp_ieee_overflow 0
		.amdhsa_exception_fp_ieee_underflow 0
		.amdhsa_exception_fp_ieee_inexact 0
		.amdhsa_exception_int_div_zero 0
	.end_amdhsa_kernel
	.section	.text._Z10pnpoly_optILi1EEvPiPK15HIP_vector_typeIfLj2EES4_i,"axG",@progbits,_Z10pnpoly_optILi1EEvPiPK15HIP_vector_typeIfLj2EES4_i,comdat
.Lfunc_end1:
	.size	_Z10pnpoly_optILi1EEvPiPK15HIP_vector_typeIfLj2EES4_i, .Lfunc_end1-_Z10pnpoly_optILi1EEvPiPK15HIP_vector_typeIfLj2EES4_i
                                        ; -- End function
	.set _Z10pnpoly_optILi1EEvPiPK15HIP_vector_typeIfLj2EES4_i.num_vgpr, 44
	.set _Z10pnpoly_optILi1EEvPiPK15HIP_vector_typeIfLj2EES4_i.num_agpr, 0
	.set _Z10pnpoly_optILi1EEvPiPK15HIP_vector_typeIfLj2EES4_i.numbered_sgpr, 30
	.set _Z10pnpoly_optILi1EEvPiPK15HIP_vector_typeIfLj2EES4_i.num_named_barrier, 0
	.set _Z10pnpoly_optILi1EEvPiPK15HIP_vector_typeIfLj2EES4_i.private_seg_size, 0
	.set _Z10pnpoly_optILi1EEvPiPK15HIP_vector_typeIfLj2EES4_i.uses_vcc, 1
	.set _Z10pnpoly_optILi1EEvPiPK15HIP_vector_typeIfLj2EES4_i.uses_flat_scratch, 0
	.set _Z10pnpoly_optILi1EEvPiPK15HIP_vector_typeIfLj2EES4_i.has_dyn_sized_stack, 0
	.set _Z10pnpoly_optILi1EEvPiPK15HIP_vector_typeIfLj2EES4_i.has_recursion, 0
	.set _Z10pnpoly_optILi1EEvPiPK15HIP_vector_typeIfLj2EES4_i.has_indirect_call, 0
	.section	.AMDGPU.csdata,"",@progbits
; Kernel info:
; codeLenInByte = 996
; TotalNumSgprs: 32
; NumVgprs: 44
; ScratchSize: 0
; MemoryBound: 0
; FloatMode: 240
; IeeeMode: 1
; LDSByteSize: 0 bytes/workgroup (compile time only)
; SGPRBlocks: 0
; VGPRBlocks: 2
; NumSGPRsForWavesPerEU: 32
; NumVGPRsForWavesPerEU: 44
; NamedBarCnt: 0
; Occupancy: 16
; WaveLimiterHint : 0
; COMPUTE_PGM_RSRC2:SCRATCH_EN: 0
; COMPUTE_PGM_RSRC2:USER_SGPR: 2
; COMPUTE_PGM_RSRC2:TRAP_HANDLER: 0
; COMPUTE_PGM_RSRC2:TGID_X_EN: 1
; COMPUTE_PGM_RSRC2:TGID_Y_EN: 0
; COMPUTE_PGM_RSRC2:TGID_Z_EN: 0
; COMPUTE_PGM_RSRC2:TIDIG_COMP_CNT: 0
	.section	.text._Z10pnpoly_optILi2EEvPiPK15HIP_vector_typeIfLj2EES4_i,"axG",@progbits,_Z10pnpoly_optILi2EEvPiPK15HIP_vector_typeIfLj2EES4_i,comdat
	.protected	_Z10pnpoly_optILi2EEvPiPK15HIP_vector_typeIfLj2EES4_i ; -- Begin function _Z10pnpoly_optILi2EEvPiPK15HIP_vector_typeIfLj2EES4_i
	.globl	_Z10pnpoly_optILi2EEvPiPK15HIP_vector_typeIfLj2EES4_i
	.p2align	8
	.type	_Z10pnpoly_optILi2EEvPiPK15HIP_vector_typeIfLj2EES4_i,@function
_Z10pnpoly_optILi2EEvPiPK15HIP_vector_typeIfLj2EES4_i: ; @_Z10pnpoly_optILi2EEvPiPK15HIP_vector_typeIfLj2EES4_i
; %bb.0:
	s_load_b32 s2, s[0:1], 0x18
	s_bfe_u32 s3, ttmp6, 0x4000c
	s_and_b32 s4, ttmp6, 15
	s_add_co_i32 s3, s3, 1
	s_getreg_b32 s5, hwreg(HW_REG_IB_STS2, 6, 4)
	s_mul_i32 s3, ttmp9, s3
	s_delay_alu instid0(SALU_CYCLE_1) | instskip(SKIP_2) | instid1(SALU_CYCLE_1)
	s_add_co_i32 s4, s4, s3
	s_cmp_eq_u32 s5, 0
	s_cselect_b32 s3, ttmp9, s4
	v_lshl_add_u32 v0, s3, 9, v0
	s_mov_b32 s3, exec_lo
	s_wait_kmcnt 0x0
	s_delay_alu instid0(VALU_DEP_1)
	v_cmpx_gt_i32_e64 s2, v0
	s_cbranch_execz .LBB2_15
; %bb.1:
	s_load_b128 s[4:7], s[0:1], 0x8
	v_add_nc_u32_e32 v4, 0x100, v0
	v_ashrrev_i32_e32 v1, 31, v0
	s_delay_alu instid0(VALU_DEP_2)
	v_cmp_gt_i32_e64 s2, s2, v4
                                        ; implicit-def: $vgpr4
	s_wait_kmcnt 0x0
	global_load_b64 v[2:3], v0, s[4:5] scale_offset
	s_wait_xcnt 0x0
	s_and_saveexec_b32 s3, s2
	s_cbranch_execz .LBB2_3
; %bb.2:
	v_lshl_add_u64 v[4:5], v[0:1], 3, s[4:5]
	global_load_b64 v[4:5], v[4:5], off offset:2048
.LBB2_3:
	s_wait_xcnt 0x0
	s_or_b32 exec_lo, exec_lo, s3
	s_load_b64 s[4:5], s[0:1], 0x0
	s_load_b64 s[10:11], s[6:7], 0x12b8
	v_mov_b64_e32 v[6:7], 0
	s_mov_b64 s[8:9], 0
	s_branch .LBB2_6
.LBB2_4:                                ;   in Loop: Header=BB2_6 Depth=1
	s_or_b32 exec_lo, exec_lo, s1
.LBB2_5:                                ;   in Loop: Header=BB2_6 Depth=1
	s_delay_alu instid0(SALU_CYCLE_1)
	s_or_b32 exec_lo, exec_lo, s0
	v_subrev_f32_e32 v9, s11, v5
	v_cmp_eq_u32_e64 s1, 0, v7
	v_cmp_gt_f32_e32 vcc_lo, s11, v5
	v_cmp_ngt_f32_e64 s0, s13, v5
	s_add_nc_u64 s[8:9], s[8:9], 16
	v_fma_f32 v8, v8, v9, s10
	v_cndmask_b32_e64 v9, 0, 1, s1
	s_xor_b32 s0, vcc_lo, s0
	s_delay_alu instid0(SALU_CYCLE_1) | instskip(NEXT) | instid1(VALU_DEP_2)
	s_xor_b32 s0, s0, -1
	v_cmp_lt_f32_e64 s1, v4, v8
	s_and_b32 vcc_lo, s0, s1
	s_cmp_lg_u32 s8, 0x12c0
	v_cndmask_b32_e32 v7, v7, v9, vcc_lo
	s_cbranch_scc0 .LBB2_13
.LBB2_6:                                ; =>This Inner Loop Header: Depth=1
	s_add_nc_u64 s[14:15], s[6:7], s[8:9]
	s_wait_kmcnt 0x0
	v_mov_b64_e32 v[8:9], s[10:11]
	s_load_b64 s[12:13], s[14:15], 0x0
	s_wait_loadcnt 0x0
	v_cmp_ngt_f32_e64 s0, s11, v3
	s_wait_kmcnt 0x0
	v_mov_b64_e32 v[10:11], s[12:13]
	s_delay_alu instid0(VALU_DEP_1) | instskip(NEXT) | instid1(VALU_DEP_1)
	v_pk_add_f32 v[8:9], v[8:9], v[10:11] neg_lo:[0,1] neg_hi:[0,1]
	v_div_scale_f32 v10, null, v9, v9, v8
	v_div_scale_f32 v13, vcc_lo, v8, v9, v8
	s_delay_alu instid0(VALU_DEP_2)
	v_rcp_f32_e32 v11, v10
	v_nop
	v_xor_b32_e32 v10, 0x80000000, v10
	s_delay_alu instid0(TRANS32_DEP_1) | instid1(VALU_DEP_1)
	v_fma_f32 v12, v10, v11, 1.0
	s_delay_alu instid0(VALU_DEP_1) | instskip(NEXT) | instid1(VALU_DEP_1)
	v_fmac_f32_e32 v11, v12, v11
	v_mul_f32_e32 v12, v13, v11
	s_delay_alu instid0(VALU_DEP_1) | instskip(NEXT) | instid1(VALU_DEP_1)
	v_fma_f32 v14, v10, v12, v13
	v_fmac_f32_e32 v12, v14, v11
	s_delay_alu instid0(VALU_DEP_1) | instskip(NEXT) | instid1(VALU_DEP_1)
	v_fmac_f32_e32 v13, v10, v12
	v_div_fmas_f32 v10, v13, v11, v12
	v_cmp_gt_f32_e32 vcc_lo, s13, v3
	s_delay_alu instid0(VALU_DEP_2) | instskip(SKIP_1) | instid1(SALU_CYCLE_1)
	v_div_fixup_f32 v8, v10, v9, v8
	s_xor_b32 s0, vcc_lo, s0
	s_xor_b32 s1, s0, -1
	s_delay_alu instid0(SALU_CYCLE_1)
	s_and_saveexec_b32 s0, s1
	s_cbranch_execz .LBB2_10
; %bb.7:                                ;   in Loop: Header=BB2_6 Depth=1
	v_subrev_f32_e32 v9, s13, v3
	s_mov_b32 s1, exec_lo
	s_delay_alu instid0(VALU_DEP_1) | instskip(NEXT) | instid1(VALU_DEP_1)
	v_fma_f32 v9, v8, v9, s12
	v_cmpx_lt_f32_e32 v2, v9
; %bb.8:                                ;   in Loop: Header=BB2_6 Depth=1
	v_cmp_eq_u32_e32 vcc_lo, 0, v6
	v_cndmask_b32_e64 v6, 0, 1, vcc_lo
; %bb.9:                                ;   in Loop: Header=BB2_6 Depth=1
	s_or_b32 exec_lo, exec_lo, s1
.LBB2_10:                               ;   in Loop: Header=BB2_6 Depth=1
	s_delay_alu instid0(SALU_CYCLE_1)
	s_or_b32 exec_lo, exec_lo, s0
	v_cmp_ngt_f32_e32 vcc_lo, s11, v5
	s_load_b64 s[10:11], s[14:15], 0x8
	v_mov_b64_e32 v[10:11], s[12:13]
	v_cmp_gt_f32_e64 s1, s13, v5
	v_cmp_eq_u32_e64 s3, 0, v7
	v_subrev_f32_e32 v16, s13, v5
	s_xor_b32 s1, s1, vcc_lo
	s_delay_alu instid0(VALU_DEP_1) | instskip(SKIP_2) | instid1(VALU_DEP_1)
	v_fma_f32 v8, v8, v16, s12
	s_wait_kmcnt 0x0
	v_mov_b64_e32 v[12:13], s[10:11]
	v_pk_add_f32 v[10:11], v[10:11], v[12:13] neg_lo:[0,1] neg_hi:[0,1]
	s_delay_alu instid0(VALU_DEP_1)
	v_div_scale_f32 v9, null, v11, v11, v10
	v_div_scale_f32 v14, s0, v10, v11, v10
	s_mov_b32 vcc_lo, s0
	v_rcp_f32_e32 v12, v9
	v_nop
	v_xor_b32_e32 v9, 0x80000000, v9
	v_cmp_ngt_f32_e64 s0, s13, v3
	s_delay_alu instid0(TRANS32_DEP_1) | instid1(VALU_DEP_2)
	v_fma_f32 v13, v9, v12, 1.0
	s_delay_alu instid0(VALU_DEP_1) | instskip(NEXT) | instid1(VALU_DEP_1)
	v_fmac_f32_e32 v12, v13, v12
	v_mul_f32_e32 v13, v14, v12
	s_delay_alu instid0(VALU_DEP_1) | instskip(NEXT) | instid1(VALU_DEP_1)
	v_fma_f32 v15, v9, v13, v14
	v_fmac_f32_e32 v13, v15, v12
	v_cndmask_b32_e64 v15, 0, 1, s3
	s_xor_b32 s3, s1, -1
	v_cmp_lt_f32_e64 s1, v4, v8
	s_delay_alu instid0(VALU_DEP_3) | instskip(SKIP_1) | instid1(VALU_DEP_1)
	v_fmac_f32_e32 v14, v9, v13
	s_and_b32 s1, s3, s1
	v_div_fmas_f32 v8, v14, v12, v13
	v_cmp_gt_f32_e32 vcc_lo, s11, v3
	v_cndmask_b32_e64 v7, v7, v15, s1
	s_delay_alu instid0(VALU_DEP_3) | instskip(SKIP_1) | instid1(SALU_CYCLE_1)
	v_div_fixup_f32 v8, v8, v11, v10
	s_xor_b32 s0, vcc_lo, s0
	s_xor_b32 s1, s0, -1
	s_delay_alu instid0(SALU_CYCLE_1)
	s_and_saveexec_b32 s0, s1
	s_cbranch_execz .LBB2_5
; %bb.11:                               ;   in Loop: Header=BB2_6 Depth=1
	v_subrev_f32_e32 v9, s11, v3
	s_mov_b32 s1, exec_lo
	s_delay_alu instid0(VALU_DEP_1) | instskip(NEXT) | instid1(VALU_DEP_1)
	v_fma_f32 v9, v8, v9, s10
	v_cmpx_lt_f32_e32 v2, v9
	s_cbranch_execz .LBB2_4
; %bb.12:                               ;   in Loop: Header=BB2_6 Depth=1
	v_cmp_eq_u32_e32 vcc_lo, 0, v6
	v_cndmask_b32_e64 v6, 0, 1, vcc_lo
	s_branch .LBB2_4
.LBB2_13:
	v_lshl_add_u64 v[0:1], v[0:1], 2, s[4:5]
	global_store_b32 v[0:1], v6, off
	s_wait_xcnt 0x0
	s_and_b32 exec_lo, exec_lo, s2
	s_cbranch_execz .LBB2_15
; %bb.14:
	global_store_b32 v[0:1], v7, off offset:1024
.LBB2_15:
	s_endpgm
	.section	.rodata,"a",@progbits
	.p2align	6, 0x0
	.amdhsa_kernel _Z10pnpoly_optILi2EEvPiPK15HIP_vector_typeIfLj2EES4_i
		.amdhsa_group_segment_fixed_size 0
		.amdhsa_private_segment_fixed_size 0
		.amdhsa_kernarg_size 28
		.amdhsa_user_sgpr_count 2
		.amdhsa_user_sgpr_dispatch_ptr 0
		.amdhsa_user_sgpr_queue_ptr 0
		.amdhsa_user_sgpr_kernarg_segment_ptr 1
		.amdhsa_user_sgpr_dispatch_id 0
		.amdhsa_user_sgpr_kernarg_preload_length 0
		.amdhsa_user_sgpr_kernarg_preload_offset 0
		.amdhsa_user_sgpr_private_segment_size 0
		.amdhsa_wavefront_size32 1
		.amdhsa_uses_dynamic_stack 0
		.amdhsa_enable_private_segment 0
		.amdhsa_system_sgpr_workgroup_id_x 1
		.amdhsa_system_sgpr_workgroup_id_y 0
		.amdhsa_system_sgpr_workgroup_id_z 0
		.amdhsa_system_sgpr_workgroup_info 0
		.amdhsa_system_vgpr_workitem_id 0
		.amdhsa_next_free_vgpr 17
		.amdhsa_next_free_sgpr 16
		.amdhsa_named_barrier_count 0
		.amdhsa_reserve_vcc 1
		.amdhsa_float_round_mode_32 0
		.amdhsa_float_round_mode_16_64 0
		.amdhsa_float_denorm_mode_32 3
		.amdhsa_float_denorm_mode_16_64 3
		.amdhsa_fp16_overflow 0
		.amdhsa_memory_ordered 1
		.amdhsa_forward_progress 1
		.amdhsa_inst_pref_size 7
		.amdhsa_round_robin_scheduling 0
		.amdhsa_exception_fp_ieee_invalid_op 0
		.amdhsa_exception_fp_denorm_src 0
		.amdhsa_exception_fp_ieee_div_zero 0
		.amdhsa_exception_fp_ieee_overflow 0
		.amdhsa_exception_fp_ieee_underflow 0
		.amdhsa_exception_fp_ieee_inexact 0
		.amdhsa_exception_int_div_zero 0
	.end_amdhsa_kernel
	.section	.text._Z10pnpoly_optILi2EEvPiPK15HIP_vector_typeIfLj2EES4_i,"axG",@progbits,_Z10pnpoly_optILi2EEvPiPK15HIP_vector_typeIfLj2EES4_i,comdat
.Lfunc_end2:
	.size	_Z10pnpoly_optILi2EEvPiPK15HIP_vector_typeIfLj2EES4_i, .Lfunc_end2-_Z10pnpoly_optILi2EEvPiPK15HIP_vector_typeIfLj2EES4_i
                                        ; -- End function
	.set _Z10pnpoly_optILi2EEvPiPK15HIP_vector_typeIfLj2EES4_i.num_vgpr, 17
	.set _Z10pnpoly_optILi2EEvPiPK15HIP_vector_typeIfLj2EES4_i.num_agpr, 0
	.set _Z10pnpoly_optILi2EEvPiPK15HIP_vector_typeIfLj2EES4_i.numbered_sgpr, 16
	.set _Z10pnpoly_optILi2EEvPiPK15HIP_vector_typeIfLj2EES4_i.num_named_barrier, 0
	.set _Z10pnpoly_optILi2EEvPiPK15HIP_vector_typeIfLj2EES4_i.private_seg_size, 0
	.set _Z10pnpoly_optILi2EEvPiPK15HIP_vector_typeIfLj2EES4_i.uses_vcc, 1
	.set _Z10pnpoly_optILi2EEvPiPK15HIP_vector_typeIfLj2EES4_i.uses_flat_scratch, 0
	.set _Z10pnpoly_optILi2EEvPiPK15HIP_vector_typeIfLj2EES4_i.has_dyn_sized_stack, 0
	.set _Z10pnpoly_optILi2EEvPiPK15HIP_vector_typeIfLj2EES4_i.has_recursion, 0
	.set _Z10pnpoly_optILi2EEvPiPK15HIP_vector_typeIfLj2EES4_i.has_indirect_call, 0
	.section	.AMDGPU.csdata,"",@progbits
; Kernel info:
; codeLenInByte = 852
; TotalNumSgprs: 18
; NumVgprs: 17
; ScratchSize: 0
; MemoryBound: 0
; FloatMode: 240
; IeeeMode: 1
; LDSByteSize: 0 bytes/workgroup (compile time only)
; SGPRBlocks: 0
; VGPRBlocks: 1
; NumSGPRsForWavesPerEU: 18
; NumVGPRsForWavesPerEU: 17
; NamedBarCnt: 0
; Occupancy: 16
; WaveLimiterHint : 0
; COMPUTE_PGM_RSRC2:SCRATCH_EN: 0
; COMPUTE_PGM_RSRC2:USER_SGPR: 2
; COMPUTE_PGM_RSRC2:TRAP_HANDLER: 0
; COMPUTE_PGM_RSRC2:TGID_X_EN: 1
; COMPUTE_PGM_RSRC2:TGID_Y_EN: 0
; COMPUTE_PGM_RSRC2:TGID_Z_EN: 0
; COMPUTE_PGM_RSRC2:TIDIG_COMP_CNT: 0
	.section	.text._Z10pnpoly_optILi4EEvPiPK15HIP_vector_typeIfLj2EES4_i,"axG",@progbits,_Z10pnpoly_optILi4EEvPiPK15HIP_vector_typeIfLj2EES4_i,comdat
	.protected	_Z10pnpoly_optILi4EEvPiPK15HIP_vector_typeIfLj2EES4_i ; -- Begin function _Z10pnpoly_optILi4EEvPiPK15HIP_vector_typeIfLj2EES4_i
	.globl	_Z10pnpoly_optILi4EEvPiPK15HIP_vector_typeIfLj2EES4_i
	.p2align	8
	.type	_Z10pnpoly_optILi4EEvPiPK15HIP_vector_typeIfLj2EES4_i,@function
_Z10pnpoly_optILi4EEvPiPK15HIP_vector_typeIfLj2EES4_i: ; @_Z10pnpoly_optILi4EEvPiPK15HIP_vector_typeIfLj2EES4_i
; %bb.0:
	s_load_b32 s4, s[0:1], 0x18
	s_bfe_u32 s2, ttmp6, 0x4000c
	s_and_b32 s3, ttmp6, 15
	s_add_co_i32 s2, s2, 1
	s_getreg_b32 s5, hwreg(HW_REG_IB_STS2, 6, 4)
	s_mul_i32 s2, ttmp9, s2
	s_delay_alu instid0(SALU_CYCLE_1) | instskip(SKIP_2) | instid1(SALU_CYCLE_1)
	s_add_co_i32 s3, s3, s2
	s_cmp_eq_u32 s5, 0
	s_cselect_b32 s2, ttmp9, s3
	v_lshl_or_b32 v4, s2, 10, v0
	s_mov_b32 s2, exec_lo
	s_wait_kmcnt 0x0
	s_delay_alu instid0(VALU_DEP_1)
	v_cmpx_gt_i32_e64 s4, v4
	s_cbranch_execz .LBB3_17
; %bb.1:
	s_load_b64 s[2:3], s[0:1], 0x8
	v_ashrrev_i32_e32 v5, 31, v4
	v_add_nc_u32_e32 v2, 0x100, v4
                                        ; implicit-def: $vgpr8
	s_wait_kmcnt 0x0
	global_load_b64 v[6:7], v4, s[2:3] scale_offset
	v_lshl_add_u64 v[0:1], v[4:5], 3, s[2:3]
	s_wait_xcnt 0x0
	v_cmp_gt_i32_e64 s2, s4, v2
	s_and_saveexec_b32 s3, s2
	s_cbranch_execz .LBB3_3
; %bb.2:
	global_load_b64 v[8:9], v[0:1], off offset:2048
.LBB3_3:
	s_wait_xcnt 0x0
	s_or_b32 exec_lo, exec_lo, s3
	s_load_b64 s[8:9], s[0:1], 0x10
	v_add_nc_u32_e32 v2, 0x200, v4
                                        ; implicit-def: $vgpr10
	s_delay_alu instid0(VALU_DEP_1)
	v_cmp_gt_i32_e64 s3, s4, v2
	s_and_saveexec_b32 s5, s3
	s_cbranch_execz .LBB3_5
; %bb.4:
	global_load_b64 v[10:11], v[0:1], off offset:4096
.LBB3_5:
	s_wait_xcnt 0x0
	s_or_b32 exec_lo, exec_lo, s5
	v_add_nc_u32_e32 v2, 0x300, v4
                                        ; implicit-def: $vgpr12
	s_delay_alu instid0(VALU_DEP_1)
	v_cmp_gt_i32_e64 s4, s4, v2
	s_and_saveexec_b32 s5, s4
	s_cbranch_execz .LBB3_7
; %bb.6:
	global_load_b64 v[12:13], v[0:1], off offset:6144
.LBB3_7:
	s_wait_xcnt 0x0
	s_or_b32 exec_lo, exec_lo, s5
	s_load_b64 s[10:11], s[0:1], 0x0
	s_wait_kmcnt 0x0
	s_load_b64 s[6:7], s[8:9], 0x12b8
	v_mov_b32_e32 v0, 0
	s_mov_b64 s[12:13], 0
	s_delay_alu instid0(VALU_DEP_1)
	v_dual_mov_b32 v1, v0 :: v_dual_mov_b32 v2, v0
	v_mov_b32_e32 v3, v0
	s_branch .LBB3_10
.LBB3_8:                                ;   in Loop: Header=BB3_10 Depth=1
	s_or_b32 exec_lo, exec_lo, s1
.LBB3_9:                                ;   in Loop: Header=BB3_10 Depth=1
	s_delay_alu instid0(SALU_CYCLE_1) | instskip(SKIP_4) | instid1(VALU_DEP_4)
	s_or_b32 exec_lo, exec_lo, s0
	v_dual_subrev_f32 v15, s15, v9 :: v_dual_subrev_f32 v17, s15, v11
	v_cmp_gt_f32_e32 vcc_lo, s15, v9
	v_cmp_ngt_f32_e64 s0, s7, v9
	v_cmp_eq_u32_e64 s1, 0, v1
	v_fma_f32 v15, v14, v15, s14
	v_cmp_ngt_f32_e64 s5, s7, v11
	s_add_nc_u64 s[12:13], s[12:13], 8
	s_xor_b32 s0, vcc_lo, s0
	v_cndmask_b32_e64 v16, 0, 1, s1
	v_cmp_lt_f32_e64 s6, v8, v15
	v_cmp_gt_f32_e64 s1, s15, v11
	s_xor_b32 s0, s0, -1
	s_delay_alu instid0(SALU_CYCLE_1) | instskip(NEXT) | instid1(SALU_CYCLE_1)
	s_and_b32 vcc_lo, s0, s6
	v_dual_subrev_f32 v15, s15, v13 :: v_dual_cndmask_b32 v1, v1, v16, vcc_lo
	s_xor_b32 s1, s1, s5
	v_cmp_gt_f32_e32 vcc_lo, s15, v13
	v_cmp_ngt_f32_e64 s0, s7, v13
	v_cmp_eq_u32_e64 s5, 0, v2
	v_fma_f32 v16, v14, v17, s14
	v_fma_f32 v14, v14, v15, s14
	s_xor_b32 s6, s1, -1
	v_cndmask_b32_e64 v15, 0, 1, s5
	s_xor_b32 s5, vcc_lo, s0
	v_cmp_eq_u32_e64 s0, 0, v3
	v_cmp_lt_f32_e64 s1, v10, v16
	v_cmp_lt_f32_e32 vcc_lo, v12, v14
	s_xor_b32 s5, s5, -1
	v_cndmask_b32_e64 v14, 0, 1, s0
	s_and_b32 s0, s6, s1
	s_and_b32 vcc_lo, s5, vcc_lo
	v_cndmask_b32_e64 v2, v2, v15, s0
	s_cmp_lg_u32 s12, 0x12c0
	v_cndmask_b32_e32 v3, v3, v14, vcc_lo
	s_mov_b64 s[6:7], s[14:15]
	s_cbranch_scc0 .LBB3_13
.LBB3_10:                               ; =>This Inner Loop Header: Depth=1
	s_add_nc_u64 s[0:1], s[8:9], s[12:13]
	s_wait_kmcnt 0x0
	v_mov_b64_e32 v[14:15], s[6:7]
	s_load_b64 s[14:15], s[0:1], 0x0
	s_wait_loadcnt 0x0
	v_cmp_ngt_f32_e64 s0, s7, v7
	s_wait_kmcnt 0x0
	v_mov_b64_e32 v[16:17], s[14:15]
	s_delay_alu instid0(VALU_DEP_1) | instskip(NEXT) | instid1(VALU_DEP_1)
	v_pk_add_f32 v[14:15], v[14:15], v[16:17] neg_lo:[0,1] neg_hi:[0,1]
	v_div_scale_f32 v16, null, v15, v15, v14
	v_div_scale_f32 v19, vcc_lo, v14, v15, v14
	s_delay_alu instid0(VALU_DEP_2)
	v_rcp_f32_e32 v17, v16
	v_nop
	v_xor_b32_e32 v16, 0x80000000, v16
	s_delay_alu instid0(TRANS32_DEP_1) | instid1(VALU_DEP_1)
	v_fma_f32 v18, v16, v17, 1.0
	s_delay_alu instid0(VALU_DEP_1) | instskip(NEXT) | instid1(VALU_DEP_1)
	v_fmac_f32_e32 v17, v18, v17
	v_mul_f32_e32 v18, v19, v17
	s_delay_alu instid0(VALU_DEP_1) | instskip(NEXT) | instid1(VALU_DEP_1)
	v_fma_f32 v20, v16, v18, v19
	v_fmac_f32_e32 v18, v20, v17
	s_delay_alu instid0(VALU_DEP_1) | instskip(NEXT) | instid1(VALU_DEP_1)
	v_fmac_f32_e32 v19, v16, v18
	v_div_fmas_f32 v16, v19, v17, v18
	v_cmp_gt_f32_e32 vcc_lo, s15, v7
	s_delay_alu instid0(VALU_DEP_2) | instskip(SKIP_1) | instid1(SALU_CYCLE_1)
	v_div_fixup_f32 v14, v16, v15, v14
	s_xor_b32 s0, vcc_lo, s0
	s_xor_b32 s1, s0, -1
	s_delay_alu instid0(SALU_CYCLE_1)
	s_and_saveexec_b32 s0, s1
	s_cbranch_execz .LBB3_9
; %bb.11:                               ;   in Loop: Header=BB3_10 Depth=1
	v_subrev_f32_e32 v15, s15, v7
	s_mov_b32 s1, exec_lo
	s_delay_alu instid0(VALU_DEP_1) | instskip(NEXT) | instid1(VALU_DEP_1)
	v_fma_f32 v15, v14, v15, s14
	v_cmpx_lt_f32_e32 v6, v15
	s_cbranch_execz .LBB3_8
; %bb.12:                               ;   in Loop: Header=BB3_10 Depth=1
	v_cmp_eq_u32_e32 vcc_lo, 0, v0
	v_cndmask_b32_e64 v0, 0, 1, vcc_lo
	s_branch .LBB3_8
.LBB3_13:
	v_lshl_add_u64 v[4:5], v[4:5], 2, s[10:11]
	global_store_b32 v[4:5], v0, off
	s_wait_xcnt 0x0
	s_and_saveexec_b32 s0, s2
	s_cbranch_execnz .LBB3_18
; %bb.14:
	s_or_b32 exec_lo, exec_lo, s0
	s_and_saveexec_b32 s0, s3
	s_cbranch_execnz .LBB3_19
.LBB3_15:
	s_or_b32 exec_lo, exec_lo, s0
	s_delay_alu instid0(SALU_CYCLE_1)
	s_and_b32 exec_lo, exec_lo, s4
	s_cbranch_execz .LBB3_17
.LBB3_16:
	global_store_b32 v[4:5], v3, off offset:3072
.LBB3_17:
	s_endpgm
.LBB3_18:
	global_store_b32 v[4:5], v1, off offset:1024
	s_wait_xcnt 0x0
	s_or_b32 exec_lo, exec_lo, s0
	s_and_saveexec_b32 s0, s3
	s_cbranch_execz .LBB3_15
.LBB3_19:
	global_store_b32 v[4:5], v2, off offset:2048
	s_wait_xcnt 0x0
	s_or_b32 exec_lo, exec_lo, s0
	s_delay_alu instid0(SALU_CYCLE_1)
	s_and_b32 exec_lo, exec_lo, s4
	s_cbranch_execnz .LBB3_16
	s_branch .LBB3_17
	.section	.rodata,"a",@progbits
	.p2align	6, 0x0
	.amdhsa_kernel _Z10pnpoly_optILi4EEvPiPK15HIP_vector_typeIfLj2EES4_i
		.amdhsa_group_segment_fixed_size 0
		.amdhsa_private_segment_fixed_size 0
		.amdhsa_kernarg_size 28
		.amdhsa_user_sgpr_count 2
		.amdhsa_user_sgpr_dispatch_ptr 0
		.amdhsa_user_sgpr_queue_ptr 0
		.amdhsa_user_sgpr_kernarg_segment_ptr 1
		.amdhsa_user_sgpr_dispatch_id 0
		.amdhsa_user_sgpr_kernarg_preload_length 0
		.amdhsa_user_sgpr_kernarg_preload_offset 0
		.amdhsa_user_sgpr_private_segment_size 0
		.amdhsa_wavefront_size32 1
		.amdhsa_uses_dynamic_stack 0
		.amdhsa_enable_private_segment 0
		.amdhsa_system_sgpr_workgroup_id_x 1
		.amdhsa_system_sgpr_workgroup_id_y 0
		.amdhsa_system_sgpr_workgroup_id_z 0
		.amdhsa_system_sgpr_workgroup_info 0
		.amdhsa_system_vgpr_workitem_id 0
		.amdhsa_next_free_vgpr 21
		.amdhsa_next_free_sgpr 16
		.amdhsa_named_barrier_count 0
		.amdhsa_reserve_vcc 1
		.amdhsa_float_round_mode_32 0
		.amdhsa_float_round_mode_16_64 0
		.amdhsa_float_denorm_mode_32 3
		.amdhsa_float_denorm_mode_16_64 3
		.amdhsa_fp16_overflow 0
		.amdhsa_memory_ordered 1
		.amdhsa_forward_progress 1
		.amdhsa_inst_pref_size 8
		.amdhsa_round_robin_scheduling 0
		.amdhsa_exception_fp_ieee_invalid_op 0
		.amdhsa_exception_fp_denorm_src 0
		.amdhsa_exception_fp_ieee_div_zero 0
		.amdhsa_exception_fp_ieee_overflow 0
		.amdhsa_exception_fp_ieee_underflow 0
		.amdhsa_exception_fp_ieee_inexact 0
		.amdhsa_exception_int_div_zero 0
	.end_amdhsa_kernel
	.section	.text._Z10pnpoly_optILi4EEvPiPK15HIP_vector_typeIfLj2EES4_i,"axG",@progbits,_Z10pnpoly_optILi4EEvPiPK15HIP_vector_typeIfLj2EES4_i,comdat
.Lfunc_end3:
	.size	_Z10pnpoly_optILi4EEvPiPK15HIP_vector_typeIfLj2EES4_i, .Lfunc_end3-_Z10pnpoly_optILi4EEvPiPK15HIP_vector_typeIfLj2EES4_i
                                        ; -- End function
	.set _Z10pnpoly_optILi4EEvPiPK15HIP_vector_typeIfLj2EES4_i.num_vgpr, 21
	.set _Z10pnpoly_optILi4EEvPiPK15HIP_vector_typeIfLj2EES4_i.num_agpr, 0
	.set _Z10pnpoly_optILi4EEvPiPK15HIP_vector_typeIfLj2EES4_i.numbered_sgpr, 16
	.set _Z10pnpoly_optILi4EEvPiPK15HIP_vector_typeIfLj2EES4_i.num_named_barrier, 0
	.set _Z10pnpoly_optILi4EEvPiPK15HIP_vector_typeIfLj2EES4_i.private_seg_size, 0
	.set _Z10pnpoly_optILi4EEvPiPK15HIP_vector_typeIfLj2EES4_i.uses_vcc, 1
	.set _Z10pnpoly_optILi4EEvPiPK15HIP_vector_typeIfLj2EES4_i.uses_flat_scratch, 0
	.set _Z10pnpoly_optILi4EEvPiPK15HIP_vector_typeIfLj2EES4_i.has_dyn_sized_stack, 0
	.set _Z10pnpoly_optILi4EEvPiPK15HIP_vector_typeIfLj2EES4_i.has_recursion, 0
	.set _Z10pnpoly_optILi4EEvPiPK15HIP_vector_typeIfLj2EES4_i.has_indirect_call, 0
	.section	.AMDGPU.csdata,"",@progbits
; Kernel info:
; codeLenInByte = 920
; TotalNumSgprs: 18
; NumVgprs: 21
; ScratchSize: 0
; MemoryBound: 0
; FloatMode: 240
; IeeeMode: 1
; LDSByteSize: 0 bytes/workgroup (compile time only)
; SGPRBlocks: 0
; VGPRBlocks: 1
; NumSGPRsForWavesPerEU: 18
; NumVGPRsForWavesPerEU: 21
; NamedBarCnt: 0
; Occupancy: 16
; WaveLimiterHint : 0
; COMPUTE_PGM_RSRC2:SCRATCH_EN: 0
; COMPUTE_PGM_RSRC2:USER_SGPR: 2
; COMPUTE_PGM_RSRC2:TRAP_HANDLER: 0
; COMPUTE_PGM_RSRC2:TGID_X_EN: 1
; COMPUTE_PGM_RSRC2:TGID_Y_EN: 0
; COMPUTE_PGM_RSRC2:TGID_Z_EN: 0
; COMPUTE_PGM_RSRC2:TIDIG_COMP_CNT: 0
	.section	.text._Z10pnpoly_optILi8EEvPiPK15HIP_vector_typeIfLj2EES4_i,"axG",@progbits,_Z10pnpoly_optILi8EEvPiPK15HIP_vector_typeIfLj2EES4_i,comdat
	.protected	_Z10pnpoly_optILi8EEvPiPK15HIP_vector_typeIfLj2EES4_i ; -- Begin function _Z10pnpoly_optILi8EEvPiPK15HIP_vector_typeIfLj2EES4_i
	.globl	_Z10pnpoly_optILi8EEvPiPK15HIP_vector_typeIfLj2EES4_i
	.p2align	8
	.type	_Z10pnpoly_optILi8EEvPiPK15HIP_vector_typeIfLj2EES4_i,@function
_Z10pnpoly_optILi8EEvPiPK15HIP_vector_typeIfLj2EES4_i: ; @_Z10pnpoly_optILi8EEvPiPK15HIP_vector_typeIfLj2EES4_i
; %bb.0:
	s_load_b32 s8, s[0:1], 0x18
	s_bfe_u32 s2, ttmp6, 0x4000c
	s_and_b32 s3, ttmp6, 15
	s_add_co_i32 s2, s2, 1
	s_getreg_b32 s4, hwreg(HW_REG_IB_STS2, 6, 4)
	s_mul_i32 s2, ttmp9, s2
	s_delay_alu instid0(SALU_CYCLE_1) | instskip(SKIP_2) | instid1(SALU_CYCLE_1)
	s_add_co_i32 s3, s3, s2
	s_cmp_eq_u32 s4, 0
	s_cselect_b32 s2, ttmp9, s3
	v_lshl_or_b32 v8, s2, 11, v0
	s_mov_b32 s2, exec_lo
	s_wait_kmcnt 0x0
	s_delay_alu instid0(VALU_DEP_1)
	v_cmpx_gt_i32_e64 s8, v8
	s_cbranch_execz .LBB4_29
; %bb.1:
	s_load_b64 s[2:3], s[0:1], 0x8
	v_ashrrev_i32_e32 v9, 31, v8
	v_add_nc_u32_e32 v2, 0x100, v8
                                        ; implicit-def: $vgpr12
	s_wait_kmcnt 0x0
	global_load_b64 v[10:11], v8, s[2:3] scale_offset
	v_lshl_add_u64 v[0:1], v[8:9], 3, s[2:3]
	s_wait_xcnt 0x0
	v_cmp_gt_i32_e64 s2, s8, v2
	s_and_saveexec_b32 s3, s2
	s_cbranch_execz .LBB4_3
; %bb.2:
	global_load_b64 v[12:13], v[0:1], off offset:2048
.LBB4_3:
	s_wait_xcnt 0x0
	s_or_b32 exec_lo, exec_lo, s3
	v_add_nc_u32_e32 v2, 0x200, v8
                                        ; implicit-def: $vgpr14
	s_delay_alu instid0(VALU_DEP_1)
	v_cmp_gt_i32_e64 s3, s8, v2
	s_and_saveexec_b32 s4, s3
	s_cbranch_execz .LBB4_5
; %bb.4:
	global_load_b64 v[14:15], v[0:1], off offset:4096
.LBB4_5:
	s_wait_xcnt 0x0
	s_or_b32 exec_lo, exec_lo, s4
	v_add_nc_u32_e32 v2, 0x300, v8
                                        ; implicit-def: $vgpr16
	s_delay_alu instid0(VALU_DEP_1)
	v_cmp_gt_i32_e64 s4, s8, v2
	s_and_saveexec_b32 s5, s4
	s_cbranch_execz .LBB4_7
; %bb.6:
	global_load_b64 v[16:17], v[0:1], off offset:6144
.LBB4_7:
	s_wait_xcnt 0x0
	s_or_b32 exec_lo, exec_lo, s5
	v_or_b32_e32 v2, 0x400, v8
                                        ; implicit-def: $vgpr18
	s_delay_alu instid0(VALU_DEP_1)
	v_cmp_gt_i32_e64 s5, s8, v2
	s_and_saveexec_b32 s6, s5
	s_cbranch_execz .LBB4_9
; %bb.8:
	global_load_b64 v[18:19], v[0:1], off offset:8192
.LBB4_9:
	s_wait_xcnt 0x0
	s_or_b32 exec_lo, exec_lo, s6
	v_add_nc_u32_e32 v2, 0x500, v8
                                        ; implicit-def: $vgpr20
	s_delay_alu instid0(VALU_DEP_1)
	v_cmp_gt_i32_e64 s6, s8, v2
	s_and_saveexec_b32 s7, s6
	s_cbranch_execz .LBB4_11
; %bb.10:
	global_load_b64 v[20:21], v[0:1], off offset:10240
.LBB4_11:
	s_wait_xcnt 0x0
	s_or_b32 exec_lo, exec_lo, s7
	s_load_b64 s[10:11], s[0:1], 0x10
	v_add_nc_u32_e32 v2, 0x600, v8
                                        ; implicit-def: $vgpr22
	s_delay_alu instid0(VALU_DEP_1)
	v_cmp_gt_i32_e64 s7, s8, v2
	s_and_saveexec_b32 s9, s7
	s_cbranch_execz .LBB4_13
; %bb.12:
	global_load_b64 v[22:23], v[0:1], off offset:12288
.LBB4_13:
	s_wait_xcnt 0x0
	s_or_b32 exec_lo, exec_lo, s9
	v_add_nc_u32_e32 v2, 0x700, v8
                                        ; implicit-def: $vgpr24
	s_delay_alu instid0(VALU_DEP_1)
	v_cmp_gt_i32_e64 s8, s8, v2
	s_and_saveexec_b32 s9, s8
	s_cbranch_execz .LBB4_15
; %bb.14:
	global_load_b64 v[24:25], v[0:1], off offset:14336
.LBB4_15:
	s_wait_xcnt 0x0
	s_or_b32 exec_lo, exec_lo, s9
	s_load_b64 s[12:13], s[0:1], 0x0
	s_wait_kmcnt 0x0
	s_load_b64 s[16:17], s[10:11], 0x12b8
	v_mov_b32_e32 v0, 0
	s_mov_b64 s[14:15], 0
	s_delay_alu instid0(VALU_DEP_1)
	v_dual_mov_b32 v1, v0 :: v_dual_mov_b32 v2, v0
	v_dual_mov_b32 v3, v0 :: v_dual_mov_b32 v4, v0
	;; [unrolled: 1-line block ×3, first 2 shown]
	v_mov_b32_e32 v7, v0
	s_branch .LBB4_18
.LBB4_16:                               ;   in Loop: Header=BB4_18 Depth=1
	s_or_b32 exec_lo, exec_lo, s1
.LBB4_17:                               ;   in Loop: Header=BB4_18 Depth=1
	s_delay_alu instid0(SALU_CYCLE_1)
	s_or_b32 exec_lo, exec_lo, s0
	v_subrev_f32_e32 v27, s19, v13
	v_cmp_gt_f32_e64 s1, s19, v13
	v_cmp_ngt_f32_e64 s9, s17, v13
	s_add_nc_u64 s[14:15], s[14:15], 8
	v_fma_f32 v27, v26, v27, s18
	s_xor_b32 s1, s1, s9
	s_delay_alu instid0(SALU_CYCLE_1) | instskip(NEXT) | instid1(VALU_DEP_1)
	s_xor_b32 s9, s1, -1
	v_cmp_lt_f32_e32 vcc_lo, v12, v27
	v_subrev_f32_e32 v27, s19, v15
	v_cmp_eq_u32_e64 s1, 0, v1
	s_and_b32 vcc_lo, s9, vcc_lo
	v_fma_f32 v27, v26, v27, s18
	s_delay_alu instid0(VALU_DEP_1) | instskip(SKIP_2) | instid1(VALU_DEP_2)
	v_cmp_lt_f32_e64 s0, v14, v27
	v_cndmask_b32_e64 v27, 0, 1, s1
	v_cmp_ngt_f32_e64 s1, s17, v15
	v_cndmask_b32_e32 v1, v1, v27, vcc_lo
	v_cmp_gt_f32_e32 vcc_lo, s19, v15
	s_xor_b32 s1, vcc_lo, s1
	v_cmp_eq_u32_e32 vcc_lo, 0, v2
	s_xor_b32 s1, s1, -1
	v_cndmask_b32_e64 v27, 0, 1, vcc_lo
	s_and_b32 vcc_lo, s1, s0
	v_cmp_gt_f32_e64 s0, s19, v17
	v_cmp_ngt_f32_e64 s1, s17, v17
	s_delay_alu instid0(VALU_DEP_3) | instskip(SKIP_1) | instid1(SALU_CYCLE_1)
	v_dual_cndmask_b32 v2, v2, v27 :: v_dual_subrev_f32 v27, s19, v17
	s_xor_b32 s0, s0, s1
	s_xor_b32 s1, s0, -1
	s_delay_alu instid0(VALU_DEP_1) | instskip(SKIP_1) | instid1(VALU_DEP_2)
	v_fma_f32 v27, v26, v27, s18
	v_cmp_eq_u32_e64 s0, 0, v3
	v_cmp_lt_f32_e32 vcc_lo, v16, v27
	s_delay_alu instid0(VALU_DEP_2)
	v_cndmask_b32_e64 v27, 0, 1, s0
	v_cmp_gt_f32_e64 s0, s19, v19
	s_and_b32 vcc_lo, s1, vcc_lo
	v_cmp_ngt_f32_e64 s1, s17, v19
	v_cndmask_b32_e32 v3, v3, v27, vcc_lo
	v_subrev_f32_e32 v27, s19, v19
	s_xor_b32 s0, s0, s1
	s_delay_alu instid0(VALU_DEP_1) | instskip(SKIP_2) | instid1(VALU_DEP_2)
	v_fma_f32 v27, v26, v27, s18
	s_xor_b32 s1, s0, -1
	v_cmp_eq_u32_e64 s0, 0, v4
	v_cmp_lt_f32_e32 vcc_lo, v18, v27
	s_delay_alu instid0(VALU_DEP_2)
	v_cndmask_b32_e64 v27, 0, 1, s0
	v_cmp_gt_f32_e64 s0, s19, v21
	s_and_b32 vcc_lo, s1, vcc_lo
	v_cmp_ngt_f32_e64 s1, s17, v21
	v_dual_cndmask_b32 v4, v4, v27 :: v_dual_subrev_f32 v27, s19, v21
	s_xor_b32 s0, s0, s1
	s_delay_alu instid0(VALU_DEP_1) | instskip(SKIP_2) | instid1(VALU_DEP_2)
	v_fma_f32 v27, v26, v27, s18
	s_xor_b32 s1, s0, -1
	v_cmp_eq_u32_e64 s0, 0, v5
	v_cmp_lt_f32_e32 vcc_lo, v20, v27
	s_delay_alu instid0(VALU_DEP_2)
	v_cndmask_b32_e64 v27, 0, 1, s0
	v_cmp_gt_f32_e64 s0, s19, v23
	s_and_b32 vcc_lo, s1, vcc_lo
	v_cmp_ngt_f32_e64 s1, s17, v23
	v_cndmask_b32_e32 v5, v5, v27, vcc_lo
	v_subrev_f32_e32 v27, s19, v23
	s_xor_b32 s0, s0, s1
	s_delay_alu instid0(VALU_DEP_1) | instskip(SKIP_2) | instid1(VALU_DEP_2)
	v_fma_f32 v27, v26, v27, s18
	s_xor_b32 s1, s0, -1
	v_cmp_eq_u32_e64 s0, 0, v6
	v_cmp_lt_f32_e32 vcc_lo, v22, v27
	v_subrev_f32_e32 v27, s19, v25
	s_and_b32 vcc_lo, s1, vcc_lo
	s_delay_alu instid0(VALU_DEP_1)
	v_fma_f32 v26, v26, v27, s18
	v_cndmask_b32_e64 v27, 0, 1, s0
	v_cmp_gt_f32_e64 s0, s19, v25
	v_cmp_ngt_f32_e64 s1, s17, v25
	s_mov_b64 s[16:17], s[18:19]
	v_cndmask_b32_e32 v6, v6, v27, vcc_lo
	v_cmp_lt_f32_e32 vcc_lo, v24, v26
	s_xor_b32 s0, s0, s1
	s_delay_alu instid0(SALU_CYCLE_1) | instskip(SKIP_4) | instid1(VALU_DEP_1)
	s_xor_b32 s1, s0, -1
	v_cmp_eq_u32_e64 s0, 0, v7
	s_and_b32 vcc_lo, s1, vcc_lo
	s_cmp_lg_u32 s14, 0x12c0
	v_cndmask_b32_e64 v26, 0, 1, s0
	v_cndmask_b32_e32 v7, v7, v26, vcc_lo
	s_cbranch_scc0 .LBB4_21
.LBB4_18:                               ; =>This Inner Loop Header: Depth=1
	s_add_nc_u64 s[0:1], s[10:11], s[14:15]
	s_wait_kmcnt 0x0
	v_mov_b64_e32 v[26:27], s[16:17]
	s_load_b64 s[18:19], s[0:1], 0x0
	s_wait_loadcnt 0x0
	v_cmp_ngt_f32_e64 s0, s17, v11
	s_wait_kmcnt 0x0
	v_mov_b64_e32 v[28:29], s[18:19]
	s_delay_alu instid0(VALU_DEP_1) | instskip(NEXT) | instid1(VALU_DEP_1)
	v_pk_add_f32 v[26:27], v[26:27], v[28:29] neg_lo:[0,1] neg_hi:[0,1]
	v_div_scale_f32 v28, null, v27, v27, v26
	v_div_scale_f32 v31, vcc_lo, v26, v27, v26
	s_delay_alu instid0(VALU_DEP_2)
	v_rcp_f32_e32 v29, v28
	v_nop
	v_xor_b32_e32 v28, 0x80000000, v28
	s_delay_alu instid0(TRANS32_DEP_1) | instid1(VALU_DEP_1)
	v_fma_f32 v30, v28, v29, 1.0
	s_delay_alu instid0(VALU_DEP_1) | instskip(NEXT) | instid1(VALU_DEP_1)
	v_fmac_f32_e32 v29, v30, v29
	v_mul_f32_e32 v30, v31, v29
	s_delay_alu instid0(VALU_DEP_1) | instskip(NEXT) | instid1(VALU_DEP_1)
	v_fma_f32 v32, v28, v30, v31
	v_fmac_f32_e32 v30, v32, v29
	s_delay_alu instid0(VALU_DEP_1) | instskip(NEXT) | instid1(VALU_DEP_1)
	v_fmac_f32_e32 v31, v28, v30
	v_div_fmas_f32 v28, v31, v29, v30
	v_cmp_gt_f32_e32 vcc_lo, s19, v11
	s_delay_alu instid0(VALU_DEP_2) | instskip(SKIP_1) | instid1(SALU_CYCLE_1)
	v_div_fixup_f32 v26, v28, v27, v26
	s_xor_b32 s0, vcc_lo, s0
	s_xor_b32 s1, s0, -1
	s_delay_alu instid0(SALU_CYCLE_1)
	s_and_saveexec_b32 s0, s1
	s_cbranch_execz .LBB4_17
; %bb.19:                               ;   in Loop: Header=BB4_18 Depth=1
	v_subrev_f32_e32 v27, s19, v11
	s_mov_b32 s1, exec_lo
	s_delay_alu instid0(VALU_DEP_1) | instskip(NEXT) | instid1(VALU_DEP_1)
	v_fma_f32 v27, v26, v27, s18
	v_cmpx_lt_f32_e32 v10, v27
	s_cbranch_execz .LBB4_16
; %bb.20:                               ;   in Loop: Header=BB4_18 Depth=1
	v_cmp_eq_u32_e32 vcc_lo, 0, v0
	v_cndmask_b32_e64 v0, 0, 1, vcc_lo
	s_branch .LBB4_16
.LBB4_21:
	v_lshl_add_u64 v[8:9], v[8:9], 2, s[12:13]
	global_store_b32 v[8:9], v0, off
	s_wait_xcnt 0x0
	s_and_saveexec_b32 s0, s2
	s_cbranch_execnz .LBB4_30
; %bb.22:
	s_or_b32 exec_lo, exec_lo, s0
	s_and_saveexec_b32 s0, s3
	s_cbranch_execnz .LBB4_31
.LBB4_23:
	s_or_b32 exec_lo, exec_lo, s0
	s_and_saveexec_b32 s0, s4
	s_cbranch_execnz .LBB4_32
.LBB4_24:
	s_or_b32 exec_lo, exec_lo, s0
	s_and_saveexec_b32 s0, s5
	s_cbranch_execnz .LBB4_33
.LBB4_25:
	s_or_b32 exec_lo, exec_lo, s0
	s_and_saveexec_b32 s0, s6
	s_cbranch_execnz .LBB4_34
.LBB4_26:
	s_or_b32 exec_lo, exec_lo, s0
	s_and_saveexec_b32 s0, s7
	s_cbranch_execnz .LBB4_35
.LBB4_27:
	s_or_b32 exec_lo, exec_lo, s0
	s_delay_alu instid0(SALU_CYCLE_1)
	s_and_b32 exec_lo, exec_lo, s8
	s_cbranch_execz .LBB4_29
.LBB4_28:
	global_store_b32 v[8:9], v7, off offset:7168
.LBB4_29:
	s_endpgm
.LBB4_30:
	global_store_b32 v[8:9], v1, off offset:1024
	s_wait_xcnt 0x0
	s_or_b32 exec_lo, exec_lo, s0
	s_and_saveexec_b32 s0, s3
	s_cbranch_execz .LBB4_23
.LBB4_31:
	global_store_b32 v[8:9], v2, off offset:2048
	s_wait_xcnt 0x0
	s_or_b32 exec_lo, exec_lo, s0
	s_and_saveexec_b32 s0, s4
	s_cbranch_execz .LBB4_24
.LBB4_32:
	global_store_b32 v[8:9], v3, off offset:3072
	s_wait_xcnt 0x0
	s_or_b32 exec_lo, exec_lo, s0
	s_and_saveexec_b32 s0, s5
	s_cbranch_execz .LBB4_25
.LBB4_33:
	global_store_b32 v[8:9], v4, off offset:4096
	s_wait_xcnt 0x0
	s_or_b32 exec_lo, exec_lo, s0
	s_and_saveexec_b32 s0, s6
	s_cbranch_execz .LBB4_26
.LBB4_34:
	global_store_b32 v[8:9], v5, off offset:5120
	s_wait_xcnt 0x0
	s_or_b32 exec_lo, exec_lo, s0
	s_and_saveexec_b32 s0, s7
	s_cbranch_execz .LBB4_27
.LBB4_35:
	global_store_b32 v[8:9], v6, off offset:6144
	s_wait_xcnt 0x0
	s_or_b32 exec_lo, exec_lo, s0
	s_delay_alu instid0(SALU_CYCLE_1)
	s_and_b32 exec_lo, exec_lo, s8
	s_cbranch_execnz .LBB4_28
	s_branch .LBB4_29
	.section	.rodata,"a",@progbits
	.p2align	6, 0x0
	.amdhsa_kernel _Z10pnpoly_optILi8EEvPiPK15HIP_vector_typeIfLj2EES4_i
		.amdhsa_group_segment_fixed_size 0
		.amdhsa_private_segment_fixed_size 0
		.amdhsa_kernarg_size 28
		.amdhsa_user_sgpr_count 2
		.amdhsa_user_sgpr_dispatch_ptr 0
		.amdhsa_user_sgpr_queue_ptr 0
		.amdhsa_user_sgpr_kernarg_segment_ptr 1
		.amdhsa_user_sgpr_dispatch_id 0
		.amdhsa_user_sgpr_kernarg_preload_length 0
		.amdhsa_user_sgpr_kernarg_preload_offset 0
		.amdhsa_user_sgpr_private_segment_size 0
		.amdhsa_wavefront_size32 1
		.amdhsa_uses_dynamic_stack 0
		.amdhsa_enable_private_segment 0
		.amdhsa_system_sgpr_workgroup_id_x 1
		.amdhsa_system_sgpr_workgroup_id_y 0
		.amdhsa_system_sgpr_workgroup_id_z 0
		.amdhsa_system_sgpr_workgroup_info 0
		.amdhsa_system_vgpr_workitem_id 0
		.amdhsa_next_free_vgpr 33
		.amdhsa_next_free_sgpr 20
		.amdhsa_named_barrier_count 0
		.amdhsa_reserve_vcc 1
		.amdhsa_float_round_mode_32 0
		.amdhsa_float_round_mode_16_64 0
		.amdhsa_float_denorm_mode_32 3
		.amdhsa_float_denorm_mode_16_64 3
		.amdhsa_fp16_overflow 0
		.amdhsa_memory_ordered 1
		.amdhsa_forward_progress 1
		.amdhsa_inst_pref_size 13
		.amdhsa_round_robin_scheduling 0
		.amdhsa_exception_fp_ieee_invalid_op 0
		.amdhsa_exception_fp_denorm_src 0
		.amdhsa_exception_fp_ieee_div_zero 0
		.amdhsa_exception_fp_ieee_overflow 0
		.amdhsa_exception_fp_ieee_underflow 0
		.amdhsa_exception_fp_ieee_inexact 0
		.amdhsa_exception_int_div_zero 0
	.end_amdhsa_kernel
	.section	.text._Z10pnpoly_optILi8EEvPiPK15HIP_vector_typeIfLj2EES4_i,"axG",@progbits,_Z10pnpoly_optILi8EEvPiPK15HIP_vector_typeIfLj2EES4_i,comdat
.Lfunc_end4:
	.size	_Z10pnpoly_optILi8EEvPiPK15HIP_vector_typeIfLj2EES4_i, .Lfunc_end4-_Z10pnpoly_optILi8EEvPiPK15HIP_vector_typeIfLj2EES4_i
                                        ; -- End function
	.set _Z10pnpoly_optILi8EEvPiPK15HIP_vector_typeIfLj2EES4_i.num_vgpr, 33
	.set _Z10pnpoly_optILi8EEvPiPK15HIP_vector_typeIfLj2EES4_i.num_agpr, 0
	.set _Z10pnpoly_optILi8EEvPiPK15HIP_vector_typeIfLj2EES4_i.numbered_sgpr, 20
	.set _Z10pnpoly_optILi8EEvPiPK15HIP_vector_typeIfLj2EES4_i.num_named_barrier, 0
	.set _Z10pnpoly_optILi8EEvPiPK15HIP_vector_typeIfLj2EES4_i.private_seg_size, 0
	.set _Z10pnpoly_optILi8EEvPiPK15HIP_vector_typeIfLj2EES4_i.uses_vcc, 1
	.set _Z10pnpoly_optILi8EEvPiPK15HIP_vector_typeIfLj2EES4_i.uses_flat_scratch, 0
	.set _Z10pnpoly_optILi8EEvPiPK15HIP_vector_typeIfLj2EES4_i.has_dyn_sized_stack, 0
	.set _Z10pnpoly_optILi8EEvPiPK15HIP_vector_typeIfLj2EES4_i.has_recursion, 0
	.set _Z10pnpoly_optILi8EEvPiPK15HIP_vector_typeIfLj2EES4_i.has_indirect_call, 0
	.section	.AMDGPU.csdata,"",@progbits
; Kernel info:
; codeLenInByte = 1572
; TotalNumSgprs: 22
; NumVgprs: 33
; ScratchSize: 0
; MemoryBound: 0
; FloatMode: 240
; IeeeMode: 1
; LDSByteSize: 0 bytes/workgroup (compile time only)
; SGPRBlocks: 0
; VGPRBlocks: 2
; NumSGPRsForWavesPerEU: 22
; NumVGPRsForWavesPerEU: 33
; NamedBarCnt: 0
; Occupancy: 16
; WaveLimiterHint : 0
; COMPUTE_PGM_RSRC2:SCRATCH_EN: 0
; COMPUTE_PGM_RSRC2:USER_SGPR: 2
; COMPUTE_PGM_RSRC2:TRAP_HANDLER: 0
; COMPUTE_PGM_RSRC2:TGID_X_EN: 1
; COMPUTE_PGM_RSRC2:TGID_Y_EN: 0
; COMPUTE_PGM_RSRC2:TGID_Z_EN: 0
; COMPUTE_PGM_RSRC2:TIDIG_COMP_CNT: 0
	.section	.text._Z10pnpoly_optILi16EEvPiPK15HIP_vector_typeIfLj2EES4_i,"axG",@progbits,_Z10pnpoly_optILi16EEvPiPK15HIP_vector_typeIfLj2EES4_i,comdat
	.protected	_Z10pnpoly_optILi16EEvPiPK15HIP_vector_typeIfLj2EES4_i ; -- Begin function _Z10pnpoly_optILi16EEvPiPK15HIP_vector_typeIfLj2EES4_i
	.globl	_Z10pnpoly_optILi16EEvPiPK15HIP_vector_typeIfLj2EES4_i
	.p2align	8
	.type	_Z10pnpoly_optILi16EEvPiPK15HIP_vector_typeIfLj2EES4_i,@function
_Z10pnpoly_optILi16EEvPiPK15HIP_vector_typeIfLj2EES4_i: ; @_Z10pnpoly_optILi16EEvPiPK15HIP_vector_typeIfLj2EES4_i
; %bb.0:
	s_load_b32 s16, s[0:1], 0x18
	s_bfe_u32 s2, ttmp6, 0x4000c
	s_and_b32 s3, ttmp6, 15
	s_add_co_i32 s2, s2, 1
	s_getreg_b32 s4, hwreg(HW_REG_IB_STS2, 6, 4)
	s_mul_i32 s2, ttmp9, s2
	s_delay_alu instid0(SALU_CYCLE_1) | instskip(SKIP_2) | instid1(SALU_CYCLE_1)
	s_add_co_i32 s3, s3, s2
	s_cmp_eq_u32 s4, 0
	s_cselect_b32 s2, ttmp9, s3
	v_lshl_or_b32 v16, s2, 12, v0
	s_mov_b32 s2, exec_lo
	s_wait_kmcnt 0x0
	s_delay_alu instid0(VALU_DEP_1)
	v_cmpx_gt_i32_e64 s16, v16
	s_cbranch_execz .LBB5_53
; %bb.1:
	s_load_b64 s[2:3], s[0:1], 0x8
	v_ashrrev_i32_e32 v17, 31, v16
	v_add_nc_u32_e32 v2, 0x100, v16
                                        ; implicit-def: $vgpr20
	s_wait_kmcnt 0x0
	global_load_b64 v[18:19], v16, s[2:3] scale_offset
	v_lshl_add_u64 v[0:1], v[16:17], 3, s[2:3]
	s_wait_xcnt 0x0
	v_cmp_gt_i32_e64 s2, s16, v2
	s_and_saveexec_b32 s3, s2
	s_cbranch_execz .LBB5_3
; %bb.2:
	global_load_b64 v[20:21], v[0:1], off offset:2048
.LBB5_3:
	s_wait_xcnt 0x0
	s_or_b32 exec_lo, exec_lo, s3
	v_add_nc_u32_e32 v2, 0x200, v16
                                        ; implicit-def: $vgpr22
	s_delay_alu instid0(VALU_DEP_1)
	v_cmp_gt_i32_e64 s3, s16, v2
	s_and_saveexec_b32 s4, s3
	s_cbranch_execz .LBB5_5
; %bb.4:
	global_load_b64 v[22:23], v[0:1], off offset:4096
.LBB5_5:
	s_wait_xcnt 0x0
	s_or_b32 exec_lo, exec_lo, s4
	v_add_nc_u32_e32 v2, 0x300, v16
                                        ; implicit-def: $vgpr24
	s_delay_alu instid0(VALU_DEP_1)
	v_cmp_gt_i32_e64 s4, s16, v2
	s_and_saveexec_b32 s5, s4
	s_cbranch_execz .LBB5_7
; %bb.6:
	global_load_b64 v[24:25], v[0:1], off offset:6144
.LBB5_7:
	s_wait_xcnt 0x0
	s_or_b32 exec_lo, exec_lo, s5
	v_or_b32_e32 v2, 0x400, v16
                                        ; implicit-def: $vgpr26
	s_delay_alu instid0(VALU_DEP_1)
	v_cmp_gt_i32_e64 s5, s16, v2
	s_and_saveexec_b32 s6, s5
	s_cbranch_execz .LBB5_9
; %bb.8:
	global_load_b64 v[26:27], v[0:1], off offset:8192
.LBB5_9:
	s_wait_xcnt 0x0
	s_or_b32 exec_lo, exec_lo, s6
	v_add_nc_u32_e32 v2, 0x500, v16
                                        ; implicit-def: $vgpr28
	s_delay_alu instid0(VALU_DEP_1)
	v_cmp_gt_i32_e64 s6, s16, v2
	s_and_saveexec_b32 s7, s6
	s_cbranch_execz .LBB5_11
; %bb.10:
	global_load_b64 v[28:29], v[0:1], off offset:10240
.LBB5_11:
	s_wait_xcnt 0x0
	s_or_b32 exec_lo, exec_lo, s7
	v_add_nc_u32_e32 v2, 0x600, v16
                                        ; implicit-def: $vgpr30
	s_delay_alu instid0(VALU_DEP_1)
	v_cmp_gt_i32_e64 s7, s16, v2
	s_and_saveexec_b32 s8, s7
	s_cbranch_execz .LBB5_13
; %bb.12:
	global_load_b64 v[30:31], v[0:1], off offset:12288
.LBB5_13:
	s_wait_xcnt 0x0
	s_or_b32 exec_lo, exec_lo, s8
	v_add_nc_u32_e32 v2, 0x700, v16
                                        ; implicit-def: $vgpr32
	s_delay_alu instid0(VALU_DEP_1)
	v_cmp_gt_i32_e64 s8, s16, v2
	s_and_saveexec_b32 s9, s8
	s_cbranch_execz .LBB5_15
; %bb.14:
	global_load_b64 v[32:33], v[0:1], off offset:14336
.LBB5_15:
	s_wait_xcnt 0x0
	s_or_b32 exec_lo, exec_lo, s9
	v_or_b32_e32 v2, 0x800, v16
                                        ; implicit-def: $vgpr34
	s_delay_alu instid0(VALU_DEP_1)
	v_cmp_gt_i32_e64 s9, s16, v2
	s_and_saveexec_b32 s10, s9
	s_cbranch_execz .LBB5_17
; %bb.16:
	global_load_b64 v[34:35], v[0:1], off offset:16384
.LBB5_17:
	s_wait_xcnt 0x0
	s_or_b32 exec_lo, exec_lo, s10
	v_add_nc_u32_e32 v2, 0x900, v16
                                        ; implicit-def: $vgpr36
	s_delay_alu instid0(VALU_DEP_1)
	v_cmp_gt_i32_e64 s10, s16, v2
	s_and_saveexec_b32 s11, s10
	s_cbranch_execz .LBB5_19
; %bb.18:
	global_load_b64 v[36:37], v[0:1], off offset:18432
.LBB5_19:
	s_wait_xcnt 0x0
	s_or_b32 exec_lo, exec_lo, s11
	v_add_nc_u32_e32 v2, 0xa00, v16
                                        ; implicit-def: $vgpr38
	s_delay_alu instid0(VALU_DEP_1)
	v_cmp_gt_i32_e64 s11, s16, v2
	s_and_saveexec_b32 s12, s11
	s_cbranch_execz .LBB5_21
; %bb.20:
	global_load_b64 v[38:39], v[0:1], off offset:20480
.LBB5_21:
	s_wait_xcnt 0x0
	s_or_b32 exec_lo, exec_lo, s12
	v_add_nc_u32_e32 v2, 0xb00, v16
                                        ; implicit-def: $vgpr40
	s_delay_alu instid0(VALU_DEP_1)
	v_cmp_gt_i32_e64 s12, s16, v2
	s_and_saveexec_b32 s13, s12
	s_cbranch_execz .LBB5_23
; %bb.22:
	global_load_b64 v[40:41], v[0:1], off offset:22528
.LBB5_23:
	s_wait_xcnt 0x0
	s_or_b32 exec_lo, exec_lo, s13
	v_or_b32_e32 v2, 0xc00, v16
                                        ; implicit-def: $vgpr42
	s_delay_alu instid0(VALU_DEP_1)
	v_cmp_gt_i32_e64 s13, s16, v2
	s_and_saveexec_b32 s14, s13
	s_cbranch_execz .LBB5_25
; %bb.24:
	global_load_b64 v[42:43], v[0:1], off offset:24576
.LBB5_25:
	s_wait_xcnt 0x0
	s_or_b32 exec_lo, exec_lo, s14
	v_add_nc_u32_e32 v2, 0xd00, v16
                                        ; implicit-def: $vgpr44
	s_delay_alu instid0(VALU_DEP_1)
	v_cmp_gt_i32_e64 s14, s16, v2
	s_and_saveexec_b32 s15, s14
	s_cbranch_execz .LBB5_27
; %bb.26:
	global_load_b64 v[44:45], v[0:1], off offset:26624
.LBB5_27:
	s_wait_xcnt 0x0
	s_or_b32 exec_lo, exec_lo, s15
	s_load_b64 s[18:19], s[0:1], 0x10
	v_add_nc_u32_e32 v2, 0xe00, v16
                                        ; implicit-def: $vgpr46
	s_delay_alu instid0(VALU_DEP_1)
	v_cmp_gt_i32_e64 s15, s16, v2
	s_and_saveexec_b32 s17, s15
	s_cbranch_execz .LBB5_29
; %bb.28:
	global_load_b64 v[46:47], v[0:1], off offset:28672
.LBB5_29:
	s_wait_xcnt 0x0
	s_or_b32 exec_lo, exec_lo, s17
	v_add_nc_u32_e32 v2, 0xf00, v16
                                        ; implicit-def: $vgpr48
	s_delay_alu instid0(VALU_DEP_1)
	v_cmp_gt_i32_e64 s16, s16, v2
	s_and_saveexec_b32 s17, s16
	s_cbranch_execz .LBB5_31
; %bb.30:
	global_load_b64 v[48:49], v[0:1], off offset:30720
.LBB5_31:
	s_wait_xcnt 0x0
	s_or_b32 exec_lo, exec_lo, s17
	s_load_b64 s[20:21], s[0:1], 0x0
	s_wait_kmcnt 0x0
	s_load_b64 s[26:27], s[18:19], 0x12b8
	v_mov_b32_e32 v0, 0
	s_mov_b64 s[22:23], 0
	s_delay_alu instid0(VALU_DEP_1)
	v_dual_mov_b32 v1, v0 :: v_dual_mov_b32 v2, v0
	v_dual_mov_b32 v3, v0 :: v_dual_mov_b32 v4, v0
	;; [unrolled: 1-line block ×7, first 2 shown]
	v_mov_b32_e32 v15, v0
	s_branch .LBB5_34
.LBB5_32:                               ;   in Loop: Header=BB5_34 Depth=1
	s_or_b32 exec_lo, exec_lo, s1
.LBB5_33:                               ;   in Loop: Header=BB5_34 Depth=1
	s_delay_alu instid0(SALU_CYCLE_1)
	s_or_b32 exec_lo, exec_lo, s0
	v_subrev_f32_e32 v51, s25, v21
	v_cmp_gt_f32_e64 s1, s25, v21
	v_cmp_ngt_f32_e64 s17, s27, v21
	s_add_nc_u64 s[22:23], s[22:23], 8
	v_fma_f32 v51, v50, v51, s24
	s_xor_b32 s1, s1, s17
	s_delay_alu instid0(SALU_CYCLE_1) | instskip(NEXT) | instid1(VALU_DEP_1)
	s_xor_b32 s17, s1, -1
	v_cmp_lt_f32_e32 vcc_lo, v20, v51
	v_subrev_f32_e32 v51, s25, v23
	v_cmp_eq_u32_e64 s1, 0, v1
	s_and_b32 vcc_lo, s17, vcc_lo
	v_fma_f32 v51, v50, v51, s24
	s_delay_alu instid0(VALU_DEP_1) | instskip(SKIP_2) | instid1(VALU_DEP_2)
	v_cmp_lt_f32_e64 s0, v22, v51
	v_cndmask_b32_e64 v51, 0, 1, s1
	v_cmp_ngt_f32_e64 s1, s27, v23
	v_cndmask_b32_e32 v1, v1, v51, vcc_lo
	v_cmp_gt_f32_e32 vcc_lo, s25, v23
	s_xor_b32 s1, vcc_lo, s1
	v_cmp_eq_u32_e32 vcc_lo, 0, v2
	s_xor_b32 s1, s1, -1
	v_cndmask_b32_e64 v51, 0, 1, vcc_lo
	s_and_b32 vcc_lo, s1, s0
	v_cmp_gt_f32_e64 s0, s25, v25
	v_cmp_ngt_f32_e64 s1, s27, v25
	s_delay_alu instid0(VALU_DEP_3) | instskip(SKIP_1) | instid1(SALU_CYCLE_1)
	v_dual_cndmask_b32 v2, v2, v51 :: v_dual_subrev_f32 v51, s25, v25
	s_xor_b32 s0, s0, s1
	s_xor_b32 s1, s0, -1
	s_delay_alu instid0(VALU_DEP_1) | instskip(SKIP_1) | instid1(VALU_DEP_2)
	v_fma_f32 v51, v50, v51, s24
	v_cmp_eq_u32_e64 s0, 0, v3
	v_cmp_lt_f32_e32 vcc_lo, v24, v51
	s_delay_alu instid0(VALU_DEP_2)
	v_cndmask_b32_e64 v51, 0, 1, s0
	v_cmp_gt_f32_e64 s0, s25, v27
	s_and_b32 vcc_lo, s1, vcc_lo
	v_cmp_ngt_f32_e64 s1, s27, v27
	v_cndmask_b32_e32 v3, v3, v51, vcc_lo
	v_subrev_f32_e32 v51, s25, v27
	s_xor_b32 s0, s0, s1
	s_delay_alu instid0(VALU_DEP_1) | instskip(SKIP_2) | instid1(VALU_DEP_2)
	v_fma_f32 v51, v50, v51, s24
	s_xor_b32 s1, s0, -1
	v_cmp_eq_u32_e64 s0, 0, v4
	v_cmp_lt_f32_e32 vcc_lo, v26, v51
	s_delay_alu instid0(VALU_DEP_2)
	v_cndmask_b32_e64 v51, 0, 1, s0
	v_cmp_gt_f32_e64 s0, s25, v29
	s_and_b32 vcc_lo, s1, vcc_lo
	v_cmp_ngt_f32_e64 s1, s27, v29
	v_dual_cndmask_b32 v4, v4, v51 :: v_dual_subrev_f32 v51, s25, v29
	s_xor_b32 s0, s0, s1
	s_delay_alu instid0(VALU_DEP_1) | instskip(SKIP_2) | instid1(VALU_DEP_2)
	v_fma_f32 v51, v50, v51, s24
	s_xor_b32 s1, s0, -1
	v_cmp_eq_u32_e64 s0, 0, v5
	v_cmp_lt_f32_e32 vcc_lo, v28, v51
	s_delay_alu instid0(VALU_DEP_2)
	v_cndmask_b32_e64 v51, 0, 1, s0
	v_cmp_gt_f32_e64 s0, s25, v31
	s_and_b32 vcc_lo, s1, vcc_lo
	v_cmp_ngt_f32_e64 s1, s27, v31
	v_cndmask_b32_e32 v5, v5, v51, vcc_lo
	v_subrev_f32_e32 v51, s25, v31
	s_xor_b32 s0, s0, s1
	s_delay_alu instid0(VALU_DEP_1) | instskip(SKIP_2) | instid1(VALU_DEP_2)
	v_fma_f32 v51, v50, v51, s24
	s_xor_b32 s1, s0, -1
	v_cmp_eq_u32_e64 s0, 0, v6
	v_cmp_lt_f32_e32 vcc_lo, v30, v51
	s_delay_alu instid0(VALU_DEP_2)
	v_cndmask_b32_e64 v51, 0, 1, s0
	v_cmp_gt_f32_e64 s0, s25, v33
	s_and_b32 vcc_lo, s1, vcc_lo
	v_cmp_ngt_f32_e64 s1, s27, v33
	v_dual_cndmask_b32 v6, v6, v51 :: v_dual_subrev_f32 v51, s25, v33
	s_xor_b32 s0, s0, s1
	s_delay_alu instid0(VALU_DEP_1) | instskip(SKIP_2) | instid1(VALU_DEP_2)
	v_fma_f32 v51, v50, v51, s24
	s_xor_b32 s1, s0, -1
	;; [unrolled: 25-line block ×5, first 2 shown]
	v_cmp_eq_u32_e64 s0, 0, v13
	v_cmp_lt_f32_e32 vcc_lo, v44, v51
	s_delay_alu instid0(VALU_DEP_2)
	v_cndmask_b32_e64 v51, 0, 1, s0
	v_cmp_gt_f32_e64 s0, s25, v47
	s_and_b32 vcc_lo, s1, vcc_lo
	v_cmp_ngt_f32_e64 s1, s27, v47
	v_cndmask_b32_e32 v13, v13, v51, vcc_lo
	v_subrev_f32_e32 v51, s25, v47
	s_xor_b32 s0, s0, s1
	s_delay_alu instid0(VALU_DEP_1) | instskip(SKIP_2) | instid1(VALU_DEP_2)
	v_fma_f32 v51, v50, v51, s24
	s_xor_b32 s1, s0, -1
	v_cmp_eq_u32_e64 s0, 0, v14
	v_cmp_lt_f32_e32 vcc_lo, v46, v51
	v_subrev_f32_e32 v51, s25, v49
	s_and_b32 vcc_lo, s1, vcc_lo
	s_delay_alu instid0(VALU_DEP_1)
	v_fma_f32 v50, v50, v51, s24
	v_cndmask_b32_e64 v51, 0, 1, s0
	v_cmp_gt_f32_e64 s0, s25, v49
	v_cmp_ngt_f32_e64 s1, s27, v49
	s_mov_b64 s[26:27], s[24:25]
	v_cndmask_b32_e32 v14, v14, v51, vcc_lo
	v_cmp_lt_f32_e32 vcc_lo, v48, v50
	s_xor_b32 s0, s0, s1
	s_delay_alu instid0(SALU_CYCLE_1) | instskip(SKIP_4) | instid1(VALU_DEP_1)
	s_xor_b32 s1, s0, -1
	v_cmp_eq_u32_e64 s0, 0, v15
	s_and_b32 vcc_lo, s1, vcc_lo
	s_cmp_lg_u32 s22, 0x12c0
	v_cndmask_b32_e64 v50, 0, 1, s0
	v_cndmask_b32_e32 v15, v15, v50, vcc_lo
	s_cbranch_scc0 .LBB5_37
.LBB5_34:                               ; =>This Inner Loop Header: Depth=1
	s_add_nc_u64 s[0:1], s[18:19], s[22:23]
	s_wait_kmcnt 0x0
	v_mov_b64_e32 v[50:51], s[26:27]
	s_load_b64 s[24:25], s[0:1], 0x0
	s_wait_loadcnt 0x0
	v_cmp_ngt_f32_e64 s0, s27, v19
	s_wait_kmcnt 0x0
	v_mov_b64_e32 v[52:53], s[24:25]
	s_delay_alu instid0(VALU_DEP_1) | instskip(NEXT) | instid1(VALU_DEP_1)
	v_pk_add_f32 v[50:51], v[50:51], v[52:53] neg_lo:[0,1] neg_hi:[0,1]
	v_div_scale_f32 v52, null, v51, v51, v50
	v_div_scale_f32 v55, vcc_lo, v50, v51, v50
	s_delay_alu instid0(VALU_DEP_2)
	v_rcp_f32_e32 v53, v52
	v_nop
	v_xor_b32_e32 v52, 0x80000000, v52
	s_delay_alu instid0(TRANS32_DEP_1) | instid1(VALU_DEP_1)
	v_fma_f32 v54, v52, v53, 1.0
	s_delay_alu instid0(VALU_DEP_1) | instskip(NEXT) | instid1(VALU_DEP_1)
	v_fmac_f32_e32 v53, v54, v53
	v_mul_f32_e32 v54, v55, v53
	s_delay_alu instid0(VALU_DEP_1) | instskip(NEXT) | instid1(VALU_DEP_1)
	v_fma_f32 v56, v52, v54, v55
	v_fmac_f32_e32 v54, v56, v53
	s_delay_alu instid0(VALU_DEP_1) | instskip(NEXT) | instid1(VALU_DEP_1)
	v_fmac_f32_e32 v55, v52, v54
	v_div_fmas_f32 v52, v55, v53, v54
	v_cmp_gt_f32_e32 vcc_lo, s25, v19
	s_delay_alu instid0(VALU_DEP_2) | instskip(SKIP_1) | instid1(SALU_CYCLE_1)
	v_div_fixup_f32 v50, v52, v51, v50
	s_xor_b32 s0, vcc_lo, s0
	s_xor_b32 s1, s0, -1
	s_delay_alu instid0(SALU_CYCLE_1)
	s_and_saveexec_b32 s0, s1
	s_cbranch_execz .LBB5_33
; %bb.35:                               ;   in Loop: Header=BB5_34 Depth=1
	v_subrev_f32_e32 v51, s25, v19
	s_mov_b32 s1, exec_lo
	s_delay_alu instid0(VALU_DEP_1) | instskip(NEXT) | instid1(VALU_DEP_1)
	v_fma_f32 v51, v50, v51, s24
	v_cmpx_lt_f32_e32 v18, v51
	s_cbranch_execz .LBB5_32
; %bb.36:                               ;   in Loop: Header=BB5_34 Depth=1
	v_cmp_eq_u32_e32 vcc_lo, 0, v0
	v_cndmask_b32_e64 v0, 0, 1, vcc_lo
	s_branch .LBB5_32
.LBB5_37:
	v_lshl_add_u64 v[16:17], v[16:17], 2, s[20:21]
	global_store_b32 v[16:17], v0, off
	s_wait_xcnt 0x0
	s_and_saveexec_b32 s0, s2
	s_cbranch_execnz .LBB5_54
; %bb.38:
	s_or_b32 exec_lo, exec_lo, s0
	s_and_saveexec_b32 s0, s3
	s_cbranch_execnz .LBB5_55
.LBB5_39:
	s_or_b32 exec_lo, exec_lo, s0
	s_and_saveexec_b32 s0, s4
	s_cbranch_execnz .LBB5_56
.LBB5_40:
	s_or_b32 exec_lo, exec_lo, s0
	s_and_saveexec_b32 s0, s5
	s_cbranch_execnz .LBB5_57
.LBB5_41:
	s_or_b32 exec_lo, exec_lo, s0
	s_and_saveexec_b32 s0, s6
	s_cbranch_execnz .LBB5_58
.LBB5_42:
	s_or_b32 exec_lo, exec_lo, s0
	s_and_saveexec_b32 s0, s7
	s_cbranch_execnz .LBB5_59
.LBB5_43:
	s_or_b32 exec_lo, exec_lo, s0
	s_and_saveexec_b32 s0, s8
	s_cbranch_execnz .LBB5_60
.LBB5_44:
	s_or_b32 exec_lo, exec_lo, s0
	s_and_saveexec_b32 s0, s9
	s_cbranch_execnz .LBB5_61
.LBB5_45:
	s_or_b32 exec_lo, exec_lo, s0
	s_and_saveexec_b32 s0, s10
	s_cbranch_execnz .LBB5_62
.LBB5_46:
	s_or_b32 exec_lo, exec_lo, s0
	s_and_saveexec_b32 s0, s11
	s_cbranch_execnz .LBB5_63
.LBB5_47:
	s_or_b32 exec_lo, exec_lo, s0
	s_and_saveexec_b32 s0, s12
	s_cbranch_execnz .LBB5_64
.LBB5_48:
	s_or_b32 exec_lo, exec_lo, s0
	s_and_saveexec_b32 s0, s13
	s_cbranch_execnz .LBB5_65
.LBB5_49:
	s_or_b32 exec_lo, exec_lo, s0
	s_and_saveexec_b32 s0, s14
	s_cbranch_execnz .LBB5_66
.LBB5_50:
	s_or_b32 exec_lo, exec_lo, s0
	s_and_saveexec_b32 s0, s15
	s_cbranch_execnz .LBB5_67
.LBB5_51:
	s_or_b32 exec_lo, exec_lo, s0
	s_delay_alu instid0(SALU_CYCLE_1)
	s_and_b32 exec_lo, exec_lo, s16
	s_cbranch_execz .LBB5_53
.LBB5_52:
	global_store_b32 v[16:17], v15, off offset:15360
.LBB5_53:
	s_endpgm
.LBB5_54:
	global_store_b32 v[16:17], v1, off offset:1024
	s_wait_xcnt 0x0
	s_or_b32 exec_lo, exec_lo, s0
	s_and_saveexec_b32 s0, s3
	s_cbranch_execz .LBB5_39
.LBB5_55:
	global_store_b32 v[16:17], v2, off offset:2048
	s_wait_xcnt 0x0
	s_or_b32 exec_lo, exec_lo, s0
	s_and_saveexec_b32 s0, s4
	s_cbranch_execz .LBB5_40
.LBB5_56:
	global_store_b32 v[16:17], v3, off offset:3072
	s_wait_xcnt 0x0
	s_or_b32 exec_lo, exec_lo, s0
	s_and_saveexec_b32 s0, s5
	s_cbranch_execz .LBB5_41
.LBB5_57:
	global_store_b32 v[16:17], v4, off offset:4096
	s_wait_xcnt 0x0
	s_or_b32 exec_lo, exec_lo, s0
	s_and_saveexec_b32 s0, s6
	s_cbranch_execz .LBB5_42
.LBB5_58:
	global_store_b32 v[16:17], v5, off offset:5120
	s_wait_xcnt 0x0
	s_or_b32 exec_lo, exec_lo, s0
	s_and_saveexec_b32 s0, s7
	s_cbranch_execz .LBB5_43
.LBB5_59:
	global_store_b32 v[16:17], v6, off offset:6144
	s_wait_xcnt 0x0
	s_or_b32 exec_lo, exec_lo, s0
	s_and_saveexec_b32 s0, s8
	s_cbranch_execz .LBB5_44
.LBB5_60:
	global_store_b32 v[16:17], v7, off offset:7168
	s_wait_xcnt 0x0
	s_or_b32 exec_lo, exec_lo, s0
	s_and_saveexec_b32 s0, s9
	s_cbranch_execz .LBB5_45
.LBB5_61:
	global_store_b32 v[16:17], v8, off offset:8192
	s_wait_xcnt 0x0
	s_or_b32 exec_lo, exec_lo, s0
	s_and_saveexec_b32 s0, s10
	s_cbranch_execz .LBB5_46
.LBB5_62:
	global_store_b32 v[16:17], v9, off offset:9216
	s_wait_xcnt 0x0
	s_or_b32 exec_lo, exec_lo, s0
	s_and_saveexec_b32 s0, s11
	s_cbranch_execz .LBB5_47
.LBB5_63:
	global_store_b32 v[16:17], v10, off offset:10240
	s_wait_xcnt 0x0
	s_or_b32 exec_lo, exec_lo, s0
	s_and_saveexec_b32 s0, s12
	s_cbranch_execz .LBB5_48
.LBB5_64:
	global_store_b32 v[16:17], v11, off offset:11264
	s_wait_xcnt 0x0
	s_or_b32 exec_lo, exec_lo, s0
	s_and_saveexec_b32 s0, s13
	s_cbranch_execz .LBB5_49
.LBB5_65:
	global_store_b32 v[16:17], v12, off offset:12288
	s_wait_xcnt 0x0
	s_or_b32 exec_lo, exec_lo, s0
	s_and_saveexec_b32 s0, s14
	s_cbranch_execz .LBB5_50
.LBB5_66:
	global_store_b32 v[16:17], v13, off offset:13312
	s_wait_xcnt 0x0
	s_or_b32 exec_lo, exec_lo, s0
	s_and_saveexec_b32 s0, s15
	s_cbranch_execz .LBB5_51
.LBB5_67:
	global_store_b32 v[16:17], v14, off offset:14336
	s_wait_xcnt 0x0
	s_or_b32 exec_lo, exec_lo, s0
	s_delay_alu instid0(SALU_CYCLE_1)
	s_and_b32 exec_lo, exec_lo, s16
	s_cbranch_execnz .LBB5_52
	s_branch .LBB5_53
	.section	.rodata,"a",@progbits
	.p2align	6, 0x0
	.amdhsa_kernel _Z10pnpoly_optILi16EEvPiPK15HIP_vector_typeIfLj2EES4_i
		.amdhsa_group_segment_fixed_size 0
		.amdhsa_private_segment_fixed_size 0
		.amdhsa_kernarg_size 28
		.amdhsa_user_sgpr_count 2
		.amdhsa_user_sgpr_dispatch_ptr 0
		.amdhsa_user_sgpr_queue_ptr 0
		.amdhsa_user_sgpr_kernarg_segment_ptr 1
		.amdhsa_user_sgpr_dispatch_id 0
		.amdhsa_user_sgpr_kernarg_preload_length 0
		.amdhsa_user_sgpr_kernarg_preload_offset 0
		.amdhsa_user_sgpr_private_segment_size 0
		.amdhsa_wavefront_size32 1
		.amdhsa_uses_dynamic_stack 0
		.amdhsa_enable_private_segment 0
		.amdhsa_system_sgpr_workgroup_id_x 1
		.amdhsa_system_sgpr_workgroup_id_y 0
		.amdhsa_system_sgpr_workgroup_id_z 0
		.amdhsa_system_sgpr_workgroup_info 0
		.amdhsa_system_vgpr_workitem_id 0
		.amdhsa_next_free_vgpr 57
		.amdhsa_next_free_sgpr 28
		.amdhsa_named_barrier_count 0
		.amdhsa_reserve_vcc 1
		.amdhsa_float_round_mode_32 0
		.amdhsa_float_round_mode_16_64 0
		.amdhsa_float_denorm_mode_32 3
		.amdhsa_float_denorm_mode_16_64 3
		.amdhsa_fp16_overflow 0
		.amdhsa_memory_ordered 1
		.amdhsa_forward_progress 1
		.amdhsa_inst_pref_size 23
		.amdhsa_round_robin_scheduling 0
		.amdhsa_exception_fp_ieee_invalid_op 0
		.amdhsa_exception_fp_denorm_src 0
		.amdhsa_exception_fp_ieee_div_zero 0
		.amdhsa_exception_fp_ieee_overflow 0
		.amdhsa_exception_fp_ieee_underflow 0
		.amdhsa_exception_fp_ieee_inexact 0
		.amdhsa_exception_int_div_zero 0
	.end_amdhsa_kernel
	.section	.text._Z10pnpoly_optILi16EEvPiPK15HIP_vector_typeIfLj2EES4_i,"axG",@progbits,_Z10pnpoly_optILi16EEvPiPK15HIP_vector_typeIfLj2EES4_i,comdat
.Lfunc_end5:
	.size	_Z10pnpoly_optILi16EEvPiPK15HIP_vector_typeIfLj2EES4_i, .Lfunc_end5-_Z10pnpoly_optILi16EEvPiPK15HIP_vector_typeIfLj2EES4_i
                                        ; -- End function
	.set _Z10pnpoly_optILi16EEvPiPK15HIP_vector_typeIfLj2EES4_i.num_vgpr, 57
	.set _Z10pnpoly_optILi16EEvPiPK15HIP_vector_typeIfLj2EES4_i.num_agpr, 0
	.set _Z10pnpoly_optILi16EEvPiPK15HIP_vector_typeIfLj2EES4_i.numbered_sgpr, 28
	.set _Z10pnpoly_optILi16EEvPiPK15HIP_vector_typeIfLj2EES4_i.num_named_barrier, 0
	.set _Z10pnpoly_optILi16EEvPiPK15HIP_vector_typeIfLj2EES4_i.private_seg_size, 0
	.set _Z10pnpoly_optILi16EEvPiPK15HIP_vector_typeIfLj2EES4_i.uses_vcc, 1
	.set _Z10pnpoly_optILi16EEvPiPK15HIP_vector_typeIfLj2EES4_i.uses_flat_scratch, 0
	.set _Z10pnpoly_optILi16EEvPiPK15HIP_vector_typeIfLj2EES4_i.has_dyn_sized_stack, 0
	.set _Z10pnpoly_optILi16EEvPiPK15HIP_vector_typeIfLj2EES4_i.has_recursion, 0
	.set _Z10pnpoly_optILi16EEvPiPK15HIP_vector_typeIfLj2EES4_i.has_indirect_call, 0
	.section	.AMDGPU.csdata,"",@progbits
; Kernel info:
; codeLenInByte = 2884
; TotalNumSgprs: 30
; NumVgprs: 57
; ScratchSize: 0
; MemoryBound: 0
; FloatMode: 240
; IeeeMode: 1
; LDSByteSize: 0 bytes/workgroup (compile time only)
; SGPRBlocks: 0
; VGPRBlocks: 3
; NumSGPRsForWavesPerEU: 30
; NumVGPRsForWavesPerEU: 57
; NamedBarCnt: 0
; Occupancy: 16
; WaveLimiterHint : 0
; COMPUTE_PGM_RSRC2:SCRATCH_EN: 0
; COMPUTE_PGM_RSRC2:USER_SGPR: 2
; COMPUTE_PGM_RSRC2:TRAP_HANDLER: 0
; COMPUTE_PGM_RSRC2:TGID_X_EN: 1
; COMPUTE_PGM_RSRC2:TGID_Y_EN: 0
; COMPUTE_PGM_RSRC2:TGID_Z_EN: 0
; COMPUTE_PGM_RSRC2:TIDIG_COMP_CNT: 0
	.section	.text._Z10pnpoly_optILi32EEvPiPK15HIP_vector_typeIfLj2EES4_i,"axG",@progbits,_Z10pnpoly_optILi32EEvPiPK15HIP_vector_typeIfLj2EES4_i,comdat
	.protected	_Z10pnpoly_optILi32EEvPiPK15HIP_vector_typeIfLj2EES4_i ; -- Begin function _Z10pnpoly_optILi32EEvPiPK15HIP_vector_typeIfLj2EES4_i
	.globl	_Z10pnpoly_optILi32EEvPiPK15HIP_vector_typeIfLj2EES4_i
	.p2align	8
	.type	_Z10pnpoly_optILi32EEvPiPK15HIP_vector_typeIfLj2EES4_i,@function
_Z10pnpoly_optILi32EEvPiPK15HIP_vector_typeIfLj2EES4_i: ; @_Z10pnpoly_optILi32EEvPiPK15HIP_vector_typeIfLj2EES4_i
; %bb.0:
	s_load_b32 s33, s[0:1], 0x18
	s_bfe_u32 s2, ttmp6, 0x4000c
	s_and_b32 s3, ttmp6, 15
	s_add_co_i32 s2, s2, 1
	s_getreg_b32 s4, hwreg(HW_REG_IB_STS2, 6, 4)
	s_mul_i32 s2, ttmp9, s2
	s_delay_alu instid0(SALU_CYCLE_1) | instskip(SKIP_2) | instid1(SALU_CYCLE_1)
	s_add_co_i32 s3, s3, s2
	s_cmp_eq_u32 s4, 0
	s_cselect_b32 s2, ttmp9, s3
	v_lshl_or_b32 v32, s2, 13, v0
	s_mov_b32 s2, exec_lo
	s_wait_kmcnt 0x0
	s_delay_alu instid0(VALU_DEP_1)
	v_cmpx_gt_i32_e64 s33, v32
	s_cbranch_execz .LBB6_101
; %bb.1:
	s_load_b64 s[2:3], s[0:1], 0x8
	v_ashrrev_i32_e32 v33, 31, v32
	v_add_nc_u32_e32 v2, 0x100, v32
                                        ; implicit-def: $vgpr36
	s_wait_kmcnt 0x0
	global_load_b64 v[34:35], v32, s[2:3] scale_offset
	v_lshl_add_u64 v[0:1], v[32:33], 3, s[2:3]
	s_wait_xcnt 0x0
	v_cmp_gt_i32_e64 s2, s33, v2
	s_and_saveexec_b32 s3, s2
	s_cbranch_execz .LBB6_3
; %bb.2:
	global_load_b64 v[36:37], v[0:1], off offset:2048
.LBB6_3:
	s_wait_xcnt 0x0
	s_or_b32 exec_lo, exec_lo, s3
	v_add_nc_u32_e32 v2, 0x200, v32
                                        ; implicit-def: $vgpr38
	s_delay_alu instid0(VALU_DEP_1)
	v_cmp_gt_i32_e64 s3, s33, v2
	s_and_saveexec_b32 s4, s3
	s_cbranch_execz .LBB6_5
; %bb.4:
	global_load_b64 v[38:39], v[0:1], off offset:4096
.LBB6_5:
	s_wait_xcnt 0x0
	s_or_b32 exec_lo, exec_lo, s4
	v_add_nc_u32_e32 v2, 0x300, v32
                                        ; implicit-def: $vgpr40
	s_delay_alu instid0(VALU_DEP_1)
	v_cmp_gt_i32_e64 s4, s33, v2
	s_and_saveexec_b32 s5, s4
	s_cbranch_execz .LBB6_7
; %bb.6:
	global_load_b64 v[40:41], v[0:1], off offset:6144
.LBB6_7:
	s_wait_xcnt 0x0
	s_or_b32 exec_lo, exec_lo, s5
	v_or_b32_e32 v2, 0x400, v32
                                        ; implicit-def: $vgpr42
	s_delay_alu instid0(VALU_DEP_1)
	v_cmp_gt_i32_e64 s5, s33, v2
	s_and_saveexec_b32 s6, s5
	s_cbranch_execz .LBB6_9
; %bb.8:
	global_load_b64 v[42:43], v[0:1], off offset:8192
.LBB6_9:
	s_wait_xcnt 0x0
	s_or_b32 exec_lo, exec_lo, s6
	v_add_nc_u32_e32 v2, 0x500, v32
                                        ; implicit-def: $vgpr44
	s_delay_alu instid0(VALU_DEP_1)
	v_cmp_gt_i32_e64 s6, s33, v2
	s_and_saveexec_b32 s7, s6
	s_cbranch_execz .LBB6_11
; %bb.10:
	global_load_b64 v[44:45], v[0:1], off offset:10240
.LBB6_11:
	s_wait_xcnt 0x0
	s_or_b32 exec_lo, exec_lo, s7
	v_add_nc_u32_e32 v2, 0x600, v32
                                        ; implicit-def: $vgpr46
	s_delay_alu instid0(VALU_DEP_1)
	v_cmp_gt_i32_e64 s7, s33, v2
	s_and_saveexec_b32 s8, s7
	s_cbranch_execz .LBB6_13
; %bb.12:
	global_load_b64 v[46:47], v[0:1], off offset:12288
.LBB6_13:
	s_wait_xcnt 0x0
	s_or_b32 exec_lo, exec_lo, s8
	v_add_nc_u32_e32 v2, 0x700, v32
                                        ; implicit-def: $vgpr48
	s_delay_alu instid0(VALU_DEP_1)
	v_cmp_gt_i32_e64 s8, s33, v2
	s_and_saveexec_b32 s9, s8
	s_cbranch_execz .LBB6_15
; %bb.14:
	global_load_b64 v[48:49], v[0:1], off offset:14336
.LBB6_15:
	s_wait_xcnt 0x0
	s_or_b32 exec_lo, exec_lo, s9
	v_or_b32_e32 v2, 0x800, v32
                                        ; implicit-def: $vgpr50
	s_delay_alu instid0(VALU_DEP_1)
	v_cmp_gt_i32_e64 s9, s33, v2
	s_and_saveexec_b32 s10, s9
	s_cbranch_execz .LBB6_17
; %bb.16:
	global_load_b64 v[50:51], v[0:1], off offset:16384
.LBB6_17:
	s_wait_xcnt 0x0
	s_or_b32 exec_lo, exec_lo, s10
	v_add_nc_u32_e32 v2, 0x900, v32
                                        ; implicit-def: $vgpr52
	s_delay_alu instid0(VALU_DEP_1)
	v_cmp_gt_i32_e64 s10, s33, v2
	s_and_saveexec_b32 s11, s10
	s_cbranch_execz .LBB6_19
; %bb.18:
	global_load_b64 v[52:53], v[0:1], off offset:18432
.LBB6_19:
	s_wait_xcnt 0x0
	s_or_b32 exec_lo, exec_lo, s11
	v_add_nc_u32_e32 v2, 0xa00, v32
                                        ; implicit-def: $vgpr54
	s_delay_alu instid0(VALU_DEP_1)
	v_cmp_gt_i32_e64 s11, s33, v2
	s_and_saveexec_b32 s12, s11
	s_cbranch_execz .LBB6_21
; %bb.20:
	global_load_b64 v[54:55], v[0:1], off offset:20480
.LBB6_21:
	s_wait_xcnt 0x0
	s_or_b32 exec_lo, exec_lo, s12
	v_add_nc_u32_e32 v2, 0xb00, v32
                                        ; implicit-def: $vgpr56
	s_delay_alu instid0(VALU_DEP_1)
	v_cmp_gt_i32_e64 s12, s33, v2
	s_and_saveexec_b32 s13, s12
	s_cbranch_execz .LBB6_23
; %bb.22:
	global_load_b64 v[56:57], v[0:1], off offset:22528
.LBB6_23:
	s_wait_xcnt 0x0
	s_or_b32 exec_lo, exec_lo, s13
	v_or_b32_e32 v2, 0xc00, v32
                                        ; implicit-def: $vgpr58
	s_delay_alu instid0(VALU_DEP_1)
	v_cmp_gt_i32_e64 s13, s33, v2
	s_and_saveexec_b32 s14, s13
	s_cbranch_execz .LBB6_25
; %bb.24:
	global_load_b64 v[58:59], v[0:1], off offset:24576
.LBB6_25:
	s_wait_xcnt 0x0
	s_or_b32 exec_lo, exec_lo, s14
	v_add_nc_u32_e32 v2, 0xd00, v32
                                        ; implicit-def: $vgpr60
	s_delay_alu instid0(VALU_DEP_1)
	v_cmp_gt_i32_e64 s14, s33, v2
	s_and_saveexec_b32 s15, s14
	s_cbranch_execz .LBB6_27
; %bb.26:
	global_load_b64 v[60:61], v[0:1], off offset:26624
.LBB6_27:
	s_wait_xcnt 0x0
	s_or_b32 exec_lo, exec_lo, s15
	v_add_nc_u32_e32 v2, 0xe00, v32
                                        ; implicit-def: $vgpr62
	s_delay_alu instid0(VALU_DEP_1)
	v_cmp_gt_i32_e64 s15, s33, v2
	s_and_saveexec_b32 s16, s15
	s_cbranch_execz .LBB6_29
; %bb.28:
	global_load_b64 v[62:63], v[0:1], off offset:28672
.LBB6_29:
	s_wait_xcnt 0x0
	s_or_b32 exec_lo, exec_lo, s16
	v_add_nc_u32_e32 v2, 0xf00, v32
                                        ; implicit-def: $vgpr64
	s_delay_alu instid0(VALU_DEP_1)
	v_cmp_gt_i32_e64 s16, s33, v2
	s_and_saveexec_b32 s17, s16
	s_cbranch_execz .LBB6_31
; %bb.30:
	global_load_b64 v[64:65], v[0:1], off offset:30720
.LBB6_31:
	s_wait_xcnt 0x0
	s_or_b32 exec_lo, exec_lo, s17
	v_or_b32_e32 v2, 0x1000, v32
                                        ; implicit-def: $vgpr66
	s_delay_alu instid0(VALU_DEP_1)
	v_cmp_gt_i32_e64 s17, s33, v2
	s_and_saveexec_b32 s18, s17
	s_cbranch_execz .LBB6_33
; %bb.32:
	global_load_b64 v[66:67], v[0:1], off offset:32768
.LBB6_33:
	s_wait_xcnt 0x0
	s_or_b32 exec_lo, exec_lo, s18
	v_add_nc_u32_e32 v2, 0x1100, v32
                                        ; implicit-def: $vgpr68
	s_delay_alu instid0(VALU_DEP_1)
	v_cmp_gt_i32_e64 s18, s33, v2
	s_and_saveexec_b32 s19, s18
	s_cbranch_execz .LBB6_35
; %bb.34:
	global_load_b64 v[68:69], v[0:1], off offset:34816
.LBB6_35:
	s_wait_xcnt 0x0
	s_or_b32 exec_lo, exec_lo, s19
	v_add_nc_u32_e32 v2, 0x1200, v32
                                        ; implicit-def: $vgpr70
	s_delay_alu instid0(VALU_DEP_1)
	v_cmp_gt_i32_e64 s19, s33, v2
	s_and_saveexec_b32 s20, s19
	s_cbranch_execz .LBB6_37
; %bb.36:
	global_load_b64 v[70:71], v[0:1], off offset:36864
.LBB6_37:
	s_wait_xcnt 0x0
	s_or_b32 exec_lo, exec_lo, s20
	v_add_nc_u32_e32 v2, 0x1300, v32
                                        ; implicit-def: $vgpr72
	s_delay_alu instid0(VALU_DEP_1)
	v_cmp_gt_i32_e64 s20, s33, v2
	s_and_saveexec_b32 s21, s20
	s_cbranch_execz .LBB6_39
; %bb.38:
	global_load_b64 v[72:73], v[0:1], off offset:38912
.LBB6_39:
	s_wait_xcnt 0x0
	s_or_b32 exec_lo, exec_lo, s21
	v_or_b32_e32 v2, 0x1400, v32
                                        ; implicit-def: $vgpr74
	s_delay_alu instid0(VALU_DEP_1)
	v_cmp_gt_i32_e64 s21, s33, v2
	s_and_saveexec_b32 s22, s21
	s_cbranch_execz .LBB6_41
; %bb.40:
	global_load_b64 v[74:75], v[0:1], off offset:40960
.LBB6_41:
	s_wait_xcnt 0x0
	s_or_b32 exec_lo, exec_lo, s22
	v_add_nc_u32_e32 v2, 0x1500, v32
                                        ; implicit-def: $vgpr76
	s_delay_alu instid0(VALU_DEP_1)
	v_cmp_gt_i32_e64 s22, s33, v2
	s_and_saveexec_b32 s23, s22
	s_cbranch_execz .LBB6_43
; %bb.42:
	global_load_b64 v[76:77], v[0:1], off offset:43008
.LBB6_43:
	s_wait_xcnt 0x0
	s_or_b32 exec_lo, exec_lo, s23
	v_add_nc_u32_e32 v2, 0x1600, v32
                                        ; implicit-def: $vgpr78
	s_delay_alu instid0(VALU_DEP_1)
	v_cmp_gt_i32_e64 s23, s33, v2
	s_and_saveexec_b32 s24, s23
	s_cbranch_execz .LBB6_45
; %bb.44:
	global_load_b64 v[78:79], v[0:1], off offset:45056
.LBB6_45:
	s_wait_xcnt 0x0
	s_or_b32 exec_lo, exec_lo, s24
	v_add_nc_u32_e32 v2, 0x1700, v32
                                        ; implicit-def: $vgpr80
	s_delay_alu instid0(VALU_DEP_1)
	v_cmp_gt_i32_e64 s24, s33, v2
	s_and_saveexec_b32 s25, s24
	s_cbranch_execz .LBB6_47
; %bb.46:
	global_load_b64 v[80:81], v[0:1], off offset:47104
.LBB6_47:
	s_wait_xcnt 0x0
	s_or_b32 exec_lo, exec_lo, s25
	v_or_b32_e32 v2, 0x1800, v32
                                        ; implicit-def: $vgpr82
	s_delay_alu instid0(VALU_DEP_1)
	v_cmp_gt_i32_e64 s25, s33, v2
	s_and_saveexec_b32 s26, s25
	s_cbranch_execz .LBB6_49
; %bb.48:
	global_load_b64 v[82:83], v[0:1], off offset:49152
.LBB6_49:
	s_wait_xcnt 0x0
	s_or_b32 exec_lo, exec_lo, s26
	v_add_nc_u32_e32 v2, 0x1900, v32
                                        ; implicit-def: $vgpr84
	s_delay_alu instid0(VALU_DEP_1)
	v_cmp_gt_i32_e64 s26, s33, v2
	s_and_saveexec_b32 s27, s26
	s_cbranch_execz .LBB6_51
; %bb.50:
	global_load_b64 v[84:85], v[0:1], off offset:51200
.LBB6_51:
	s_wait_xcnt 0x0
	s_or_b32 exec_lo, exec_lo, s27
	v_add_nc_u32_e32 v2, 0x1a00, v32
                                        ; implicit-def: $vgpr86
	s_delay_alu instid0(VALU_DEP_1)
	v_cmp_gt_i32_e64 s27, s33, v2
	s_and_saveexec_b32 s28, s27
	s_cbranch_execz .LBB6_53
; %bb.52:
	global_load_b64 v[86:87], v[0:1], off offset:53248
.LBB6_53:
	s_wait_xcnt 0x0
	s_or_b32 exec_lo, exec_lo, s28
	v_add_nc_u32_e32 v2, 0x1b00, v32
                                        ; implicit-def: $vgpr88
	s_delay_alu instid0(VALU_DEP_1)
	v_cmp_gt_i32_e64 s28, s33, v2
	s_and_saveexec_b32 s29, s28
	s_cbranch_execz .LBB6_55
; %bb.54:
	global_load_b64 v[88:89], v[0:1], off offset:55296
.LBB6_55:
	s_wait_xcnt 0x0
	s_or_b32 exec_lo, exec_lo, s29
	v_or_b32_e32 v2, 0x1c00, v32
                                        ; implicit-def: $vgpr90
	s_delay_alu instid0(VALU_DEP_1)
	v_cmp_gt_i32_e64 s29, s33, v2
	s_and_saveexec_b32 s30, s29
	s_cbranch_execz .LBB6_57
; %bb.56:
	global_load_b64 v[90:91], v[0:1], off offset:57344
.LBB6_57:
	s_wait_xcnt 0x0
	s_or_b32 exec_lo, exec_lo, s30
	v_add_nc_u32_e32 v2, 0x1d00, v32
                                        ; implicit-def: $vgpr92
	s_delay_alu instid0(VALU_DEP_1)
	v_cmp_gt_i32_e64 s30, s33, v2
	s_and_saveexec_b32 s31, s30
	s_cbranch_execz .LBB6_59
; %bb.58:
	global_load_b64 v[92:93], v[0:1], off offset:59392
.LBB6_59:
	s_wait_xcnt 0x0
	s_or_b32 exec_lo, exec_lo, s31
	s_load_b64 s[36:37], s[0:1], 0x10
	v_add_nc_u32_e32 v2, 0x1e00, v32
                                        ; implicit-def: $vgpr94
	s_delay_alu instid0(VALU_DEP_1)
	v_cmp_gt_i32_e64 s31, s33, v2
	s_and_saveexec_b32 s34, s31
	s_cbranch_execz .LBB6_61
; %bb.60:
	global_load_b64 v[94:95], v[0:1], off offset:61440
.LBB6_61:
	s_wait_xcnt 0x0
	s_or_b32 exec_lo, exec_lo, s34
	v_add_nc_u32_e32 v2, 0x1f00, v32
                                        ; implicit-def: $vgpr96
	s_delay_alu instid0(VALU_DEP_1)
	v_cmp_gt_i32_e64 s33, s33, v2
	s_and_saveexec_b32 s34, s33
	s_cbranch_execz .LBB6_63
; %bb.62:
	global_load_b64 v[96:97], v[0:1], off offset:63488
.LBB6_63:
	s_wait_xcnt 0x0
	s_or_b32 exec_lo, exec_lo, s34
	s_load_b64 s[38:39], s[0:1], 0x0
	s_wait_kmcnt 0x0
	s_load_b64 s[34:35], s[36:37], 0x12b8
	v_mov_b32_e32 v0, 0
	s_mov_b64 s[40:41], 0
	s_delay_alu instid0(VALU_DEP_1)
	v_dual_mov_b32 v1, v0 :: v_dual_mov_b32 v2, v0
	v_dual_mov_b32 v3, v0 :: v_dual_mov_b32 v4, v0
	;; [unrolled: 1-line block ×15, first 2 shown]
	v_mov_b32_e32 v31, v0
	s_branch .LBB6_66
.LBB6_64:                               ;   in Loop: Header=BB6_66 Depth=1
	s_or_b32 exec_lo, exec_lo, s1
.LBB6_65:                               ;   in Loop: Header=BB6_66 Depth=1
	s_delay_alu instid0(SALU_CYCLE_1)
	s_or_b32 exec_lo, exec_lo, s0
	v_subrev_f32_e32 v99, s43, v37
	v_cmp_gt_f32_e64 s1, s43, v37
	v_cmp_ngt_f32_e64 s34, s35, v37
	s_add_nc_u64 s[40:41], s[40:41], 8
	v_fma_f32 v99, v98, v99, s42
	s_xor_b32 s1, s1, s34
	s_delay_alu instid0(SALU_CYCLE_1) | instskip(NEXT) | instid1(VALU_DEP_1)
	s_xor_b32 s34, s1, -1
	v_cmp_lt_f32_e32 vcc_lo, v36, v99
	v_subrev_f32_e32 v99, s43, v39
	v_cmp_eq_u32_e64 s1, 0, v1
	s_and_b32 vcc_lo, s34, vcc_lo
	v_fma_f32 v99, v98, v99, s42
	s_delay_alu instid0(VALU_DEP_1) | instskip(SKIP_2) | instid1(VALU_DEP_2)
	v_cmp_lt_f32_e64 s0, v38, v99
	v_cndmask_b32_e64 v99, 0, 1, s1
	v_cmp_ngt_f32_e64 s1, s35, v39
	v_cndmask_b32_e32 v1, v1, v99, vcc_lo
	v_cmp_gt_f32_e32 vcc_lo, s43, v39
	s_xor_b32 s1, vcc_lo, s1
	v_cmp_eq_u32_e32 vcc_lo, 0, v2
	s_xor_b32 s1, s1, -1
	v_cndmask_b32_e64 v99, 0, 1, vcc_lo
	s_and_b32 vcc_lo, s1, s0
	v_cmp_gt_f32_e64 s0, s43, v41
	v_cmp_ngt_f32_e64 s1, s35, v41
	s_delay_alu instid0(VALU_DEP_3) | instskip(SKIP_1) | instid1(SALU_CYCLE_1)
	v_dual_cndmask_b32 v2, v2, v99 :: v_dual_subrev_f32 v99, s43, v41
	s_xor_b32 s0, s0, s1
	s_xor_b32 s1, s0, -1
	s_delay_alu instid0(VALU_DEP_1) | instskip(SKIP_1) | instid1(VALU_DEP_2)
	v_fma_f32 v99, v98, v99, s42
	v_cmp_eq_u32_e64 s0, 0, v3
	v_cmp_lt_f32_e32 vcc_lo, v40, v99
	s_delay_alu instid0(VALU_DEP_2)
	v_cndmask_b32_e64 v99, 0, 1, s0
	v_cmp_gt_f32_e64 s0, s43, v43
	s_and_b32 vcc_lo, s1, vcc_lo
	v_cmp_ngt_f32_e64 s1, s35, v43
	v_cndmask_b32_e32 v3, v3, v99, vcc_lo
	v_subrev_f32_e32 v99, s43, v43
	s_xor_b32 s0, s0, s1
	s_delay_alu instid0(VALU_DEP_1) | instskip(SKIP_2) | instid1(VALU_DEP_2)
	v_fma_f32 v99, v98, v99, s42
	s_xor_b32 s1, s0, -1
	v_cmp_eq_u32_e64 s0, 0, v4
	v_cmp_lt_f32_e32 vcc_lo, v42, v99
	s_delay_alu instid0(VALU_DEP_2)
	v_cndmask_b32_e64 v99, 0, 1, s0
	v_cmp_gt_f32_e64 s0, s43, v45
	s_and_b32 vcc_lo, s1, vcc_lo
	v_cmp_ngt_f32_e64 s1, s35, v45
	v_dual_cndmask_b32 v4, v4, v99 :: v_dual_subrev_f32 v99, s43, v45
	s_xor_b32 s0, s0, s1
	s_delay_alu instid0(VALU_DEP_1) | instskip(SKIP_2) | instid1(VALU_DEP_2)
	v_fma_f32 v99, v98, v99, s42
	s_xor_b32 s1, s0, -1
	v_cmp_eq_u32_e64 s0, 0, v5
	v_cmp_lt_f32_e32 vcc_lo, v44, v99
	s_delay_alu instid0(VALU_DEP_2)
	v_cndmask_b32_e64 v99, 0, 1, s0
	v_cmp_gt_f32_e64 s0, s43, v47
	s_and_b32 vcc_lo, s1, vcc_lo
	v_cmp_ngt_f32_e64 s1, s35, v47
	v_cndmask_b32_e32 v5, v5, v99, vcc_lo
	v_subrev_f32_e32 v99, s43, v47
	s_xor_b32 s0, s0, s1
	s_delay_alu instid0(VALU_DEP_1) | instskip(SKIP_2) | instid1(VALU_DEP_2)
	v_fma_f32 v99, v98, v99, s42
	s_xor_b32 s1, s0, -1
	v_cmp_eq_u32_e64 s0, 0, v6
	v_cmp_lt_f32_e32 vcc_lo, v46, v99
	s_delay_alu instid0(VALU_DEP_2)
	v_cndmask_b32_e64 v99, 0, 1, s0
	v_cmp_gt_f32_e64 s0, s43, v49
	s_and_b32 vcc_lo, s1, vcc_lo
	v_cmp_ngt_f32_e64 s1, s35, v49
	v_dual_cndmask_b32 v6, v6, v99 :: v_dual_subrev_f32 v99, s43, v49
	s_xor_b32 s0, s0, s1
	s_delay_alu instid0(VALU_DEP_1) | instskip(SKIP_2) | instid1(VALU_DEP_2)
	v_fma_f32 v99, v98, v99, s42
	s_xor_b32 s1, s0, -1
	;; [unrolled: 25-line block ×13, first 2 shown]
	v_cmp_eq_u32_e64 s0, 0, v29
	v_cmp_lt_f32_e32 vcc_lo, v92, v99
	s_delay_alu instid0(VALU_DEP_2)
	v_cndmask_b32_e64 v99, 0, 1, s0
	v_cmp_gt_f32_e64 s0, s43, v95
	s_and_b32 vcc_lo, s1, vcc_lo
	v_cmp_ngt_f32_e64 s1, s35, v95
	v_cndmask_b32_e32 v29, v29, v99, vcc_lo
	v_subrev_f32_e32 v99, s43, v95
	s_xor_b32 s0, s0, s1
	s_delay_alu instid0(VALU_DEP_1) | instskip(SKIP_2) | instid1(VALU_DEP_2)
	v_fma_f32 v99, v98, v99, s42
	s_xor_b32 s1, s0, -1
	v_cmp_eq_u32_e64 s0, 0, v30
	v_cmp_lt_f32_e32 vcc_lo, v94, v99
	v_subrev_f32_e32 v99, s43, v97
	s_and_b32 vcc_lo, s1, vcc_lo
	s_delay_alu instid0(VALU_DEP_1)
	v_fma_f32 v98, v98, v99, s42
	v_cndmask_b32_e64 v99, 0, 1, s0
	v_cmp_gt_f32_e64 s0, s43, v97
	v_cmp_ngt_f32_e64 s1, s35, v97
	s_mov_b64 s[34:35], s[42:43]
	v_cndmask_b32_e32 v30, v30, v99, vcc_lo
	v_cmp_lt_f32_e32 vcc_lo, v96, v98
	s_xor_b32 s0, s0, s1
	s_delay_alu instid0(SALU_CYCLE_1) | instskip(SKIP_4) | instid1(VALU_DEP_1)
	s_xor_b32 s1, s0, -1
	v_cmp_eq_u32_e64 s0, 0, v31
	s_and_b32 vcc_lo, s1, vcc_lo
	s_cmp_lg_u32 s40, 0x12c0
	v_cndmask_b32_e64 v98, 0, 1, s0
	v_cndmask_b32_e32 v31, v31, v98, vcc_lo
	s_cbranch_scc0 .LBB6_69
.LBB6_66:                               ; =>This Inner Loop Header: Depth=1
	s_add_nc_u64 s[0:1], s[36:37], s[40:41]
	s_wait_kmcnt 0x0
	v_mov_b64_e32 v[98:99], s[34:35]
	s_load_b64 s[42:43], s[0:1], 0x0
	s_wait_loadcnt 0x0
	v_cmp_ngt_f32_e64 s0, s35, v35
	s_wait_kmcnt 0x0
	v_mov_b64_e32 v[100:101], s[42:43]
	s_delay_alu instid0(VALU_DEP_1) | instskip(NEXT) | instid1(VALU_DEP_1)
	v_pk_add_f32 v[98:99], v[98:99], v[100:101] neg_lo:[0,1] neg_hi:[0,1]
	v_div_scale_f32 v100, null, v99, v99, v98
	v_div_scale_f32 v103, vcc_lo, v98, v99, v98
	s_delay_alu instid0(VALU_DEP_2)
	v_rcp_f32_e32 v101, v100
	v_nop
	v_xor_b32_e32 v100, 0x80000000, v100
	s_delay_alu instid0(TRANS32_DEP_1) | instid1(VALU_DEP_1)
	v_fma_f32 v102, v100, v101, 1.0
	s_delay_alu instid0(VALU_DEP_1) | instskip(NEXT) | instid1(VALU_DEP_1)
	v_fmac_f32_e32 v101, v102, v101
	v_mul_f32_e32 v102, v103, v101
	s_delay_alu instid0(VALU_DEP_1) | instskip(NEXT) | instid1(VALU_DEP_1)
	v_fma_f32 v104, v100, v102, v103
	v_fmac_f32_e32 v102, v104, v101
	s_delay_alu instid0(VALU_DEP_1) | instskip(NEXT) | instid1(VALU_DEP_1)
	v_fmac_f32_e32 v103, v100, v102
	v_div_fmas_f32 v100, v103, v101, v102
	v_cmp_gt_f32_e32 vcc_lo, s43, v35
	s_delay_alu instid0(VALU_DEP_2) | instskip(SKIP_1) | instid1(SALU_CYCLE_1)
	v_div_fixup_f32 v98, v100, v99, v98
	s_xor_b32 s0, vcc_lo, s0
	s_xor_b32 s1, s0, -1
	s_delay_alu instid0(SALU_CYCLE_1)
	s_and_saveexec_b32 s0, s1
	s_cbranch_execz .LBB6_65
; %bb.67:                               ;   in Loop: Header=BB6_66 Depth=1
	v_subrev_f32_e32 v99, s43, v35
	s_mov_b32 s1, exec_lo
	s_delay_alu instid0(VALU_DEP_1) | instskip(NEXT) | instid1(VALU_DEP_1)
	v_fma_f32 v99, v98, v99, s42
	v_cmpx_lt_f32_e32 v34, v99
	s_cbranch_execz .LBB6_64
; %bb.68:                               ;   in Loop: Header=BB6_66 Depth=1
	v_cmp_eq_u32_e32 vcc_lo, 0, v0
	v_cndmask_b32_e64 v0, 0, 1, vcc_lo
	s_branch .LBB6_64
.LBB6_69:
	v_lshl_add_u64 v[32:33], v[32:33], 2, s[38:39]
	global_store_b32 v[32:33], v0, off
	s_wait_xcnt 0x0
	s_and_saveexec_b32 s0, s2
	s_cbranch_execnz .LBB6_102
; %bb.70:
	s_or_b32 exec_lo, exec_lo, s0
	s_and_saveexec_b32 s0, s3
	s_cbranch_execnz .LBB6_103
.LBB6_71:
	s_or_b32 exec_lo, exec_lo, s0
	s_and_saveexec_b32 s0, s4
	s_cbranch_execnz .LBB6_104
.LBB6_72:
	s_or_b32 exec_lo, exec_lo, s0
	s_and_saveexec_b32 s0, s5
	s_cbranch_execnz .LBB6_105
.LBB6_73:
	s_or_b32 exec_lo, exec_lo, s0
	s_and_saveexec_b32 s0, s6
	s_cbranch_execnz .LBB6_106
.LBB6_74:
	s_or_b32 exec_lo, exec_lo, s0
	s_and_saveexec_b32 s0, s7
	s_cbranch_execnz .LBB6_107
.LBB6_75:
	s_or_b32 exec_lo, exec_lo, s0
	s_and_saveexec_b32 s0, s8
	s_cbranch_execnz .LBB6_108
.LBB6_76:
	s_or_b32 exec_lo, exec_lo, s0
	s_and_saveexec_b32 s0, s9
	s_cbranch_execnz .LBB6_109
.LBB6_77:
	s_or_b32 exec_lo, exec_lo, s0
	s_and_saveexec_b32 s0, s10
	s_cbranch_execnz .LBB6_110
.LBB6_78:
	s_or_b32 exec_lo, exec_lo, s0
	s_and_saveexec_b32 s0, s11
	s_cbranch_execnz .LBB6_111
.LBB6_79:
	s_or_b32 exec_lo, exec_lo, s0
	s_and_saveexec_b32 s0, s12
	s_cbranch_execnz .LBB6_112
.LBB6_80:
	s_or_b32 exec_lo, exec_lo, s0
	s_and_saveexec_b32 s0, s13
	s_cbranch_execnz .LBB6_113
.LBB6_81:
	s_or_b32 exec_lo, exec_lo, s0
	s_and_saveexec_b32 s0, s14
	s_cbranch_execnz .LBB6_114
.LBB6_82:
	s_or_b32 exec_lo, exec_lo, s0
	s_and_saveexec_b32 s0, s15
	s_cbranch_execnz .LBB6_115
.LBB6_83:
	s_or_b32 exec_lo, exec_lo, s0
	s_and_saveexec_b32 s0, s16
	s_cbranch_execnz .LBB6_116
.LBB6_84:
	s_or_b32 exec_lo, exec_lo, s0
	s_and_saveexec_b32 s0, s17
	s_cbranch_execnz .LBB6_117
.LBB6_85:
	s_or_b32 exec_lo, exec_lo, s0
	s_and_saveexec_b32 s0, s18
	s_cbranch_execnz .LBB6_118
.LBB6_86:
	s_or_b32 exec_lo, exec_lo, s0
	s_and_saveexec_b32 s0, s19
	s_cbranch_execnz .LBB6_119
.LBB6_87:
	s_or_b32 exec_lo, exec_lo, s0
	s_and_saveexec_b32 s0, s20
	s_cbranch_execnz .LBB6_120
.LBB6_88:
	s_or_b32 exec_lo, exec_lo, s0
	s_and_saveexec_b32 s0, s21
	s_cbranch_execnz .LBB6_121
.LBB6_89:
	s_or_b32 exec_lo, exec_lo, s0
	s_and_saveexec_b32 s0, s22
	s_cbranch_execnz .LBB6_122
.LBB6_90:
	s_or_b32 exec_lo, exec_lo, s0
	s_and_saveexec_b32 s0, s23
	s_cbranch_execnz .LBB6_123
.LBB6_91:
	s_or_b32 exec_lo, exec_lo, s0
	s_and_saveexec_b32 s0, s24
	s_cbranch_execnz .LBB6_124
.LBB6_92:
	s_or_b32 exec_lo, exec_lo, s0
	s_and_saveexec_b32 s0, s25
	s_cbranch_execnz .LBB6_125
.LBB6_93:
	s_or_b32 exec_lo, exec_lo, s0
	s_and_saveexec_b32 s0, s26
	s_cbranch_execnz .LBB6_126
.LBB6_94:
	s_or_b32 exec_lo, exec_lo, s0
	s_and_saveexec_b32 s0, s27
	s_cbranch_execnz .LBB6_127
.LBB6_95:
	s_or_b32 exec_lo, exec_lo, s0
	s_and_saveexec_b32 s0, s28
	s_cbranch_execnz .LBB6_128
.LBB6_96:
	s_or_b32 exec_lo, exec_lo, s0
	s_and_saveexec_b32 s0, s29
	s_cbranch_execnz .LBB6_129
.LBB6_97:
	s_or_b32 exec_lo, exec_lo, s0
	s_and_saveexec_b32 s0, s30
	s_cbranch_execnz .LBB6_130
.LBB6_98:
	s_or_b32 exec_lo, exec_lo, s0
	s_and_saveexec_b32 s0, s31
	s_cbranch_execnz .LBB6_131
.LBB6_99:
	s_or_b32 exec_lo, exec_lo, s0
	s_delay_alu instid0(SALU_CYCLE_1)
	s_and_b32 exec_lo, exec_lo, s33
	s_cbranch_execz .LBB6_101
.LBB6_100:
	global_store_b32 v[32:33], v31, off offset:31744
.LBB6_101:
	s_sendmsg sendmsg(MSG_DEALLOC_VGPRS)
	s_endpgm
.LBB6_102:
	global_store_b32 v[32:33], v1, off offset:1024
	s_wait_xcnt 0x0
	s_or_b32 exec_lo, exec_lo, s0
	s_and_saveexec_b32 s0, s3
	s_cbranch_execz .LBB6_71
.LBB6_103:
	global_store_b32 v[32:33], v2, off offset:2048
	s_wait_xcnt 0x0
	s_or_b32 exec_lo, exec_lo, s0
	s_and_saveexec_b32 s0, s4
	s_cbranch_execz .LBB6_72
.LBB6_104:
	global_store_b32 v[32:33], v3, off offset:3072
	s_wait_xcnt 0x0
	s_or_b32 exec_lo, exec_lo, s0
	s_and_saveexec_b32 s0, s5
	s_cbranch_execz .LBB6_73
.LBB6_105:
	global_store_b32 v[32:33], v4, off offset:4096
	s_wait_xcnt 0x0
	s_or_b32 exec_lo, exec_lo, s0
	s_and_saveexec_b32 s0, s6
	s_cbranch_execz .LBB6_74
.LBB6_106:
	global_store_b32 v[32:33], v5, off offset:5120
	s_wait_xcnt 0x0
	s_or_b32 exec_lo, exec_lo, s0
	s_and_saveexec_b32 s0, s7
	s_cbranch_execz .LBB6_75
.LBB6_107:
	global_store_b32 v[32:33], v6, off offset:6144
	s_wait_xcnt 0x0
	s_or_b32 exec_lo, exec_lo, s0
	s_and_saveexec_b32 s0, s8
	s_cbranch_execz .LBB6_76
.LBB6_108:
	global_store_b32 v[32:33], v7, off offset:7168
	s_wait_xcnt 0x0
	s_or_b32 exec_lo, exec_lo, s0
	s_and_saveexec_b32 s0, s9
	s_cbranch_execz .LBB6_77
.LBB6_109:
	global_store_b32 v[32:33], v8, off offset:8192
	s_wait_xcnt 0x0
	s_or_b32 exec_lo, exec_lo, s0
	s_and_saveexec_b32 s0, s10
	s_cbranch_execz .LBB6_78
.LBB6_110:
	global_store_b32 v[32:33], v9, off offset:9216
	s_wait_xcnt 0x0
	s_or_b32 exec_lo, exec_lo, s0
	s_and_saveexec_b32 s0, s11
	s_cbranch_execz .LBB6_79
.LBB6_111:
	global_store_b32 v[32:33], v10, off offset:10240
	s_wait_xcnt 0x0
	s_or_b32 exec_lo, exec_lo, s0
	s_and_saveexec_b32 s0, s12
	s_cbranch_execz .LBB6_80
.LBB6_112:
	global_store_b32 v[32:33], v11, off offset:11264
	s_wait_xcnt 0x0
	s_or_b32 exec_lo, exec_lo, s0
	s_and_saveexec_b32 s0, s13
	s_cbranch_execz .LBB6_81
.LBB6_113:
	global_store_b32 v[32:33], v12, off offset:12288
	s_wait_xcnt 0x0
	s_or_b32 exec_lo, exec_lo, s0
	s_and_saveexec_b32 s0, s14
	s_cbranch_execz .LBB6_82
.LBB6_114:
	global_store_b32 v[32:33], v13, off offset:13312
	s_wait_xcnt 0x0
	s_or_b32 exec_lo, exec_lo, s0
	s_and_saveexec_b32 s0, s15
	s_cbranch_execz .LBB6_83
.LBB6_115:
	global_store_b32 v[32:33], v14, off offset:14336
	s_wait_xcnt 0x0
	s_or_b32 exec_lo, exec_lo, s0
	s_and_saveexec_b32 s0, s16
	s_cbranch_execz .LBB6_84
.LBB6_116:
	global_store_b32 v[32:33], v15, off offset:15360
	s_wait_xcnt 0x0
	s_or_b32 exec_lo, exec_lo, s0
	s_and_saveexec_b32 s0, s17
	s_cbranch_execz .LBB6_85
.LBB6_117:
	global_store_b32 v[32:33], v16, off offset:16384
	s_wait_xcnt 0x0
	s_or_b32 exec_lo, exec_lo, s0
	s_and_saveexec_b32 s0, s18
	s_cbranch_execz .LBB6_86
.LBB6_118:
	global_store_b32 v[32:33], v17, off offset:17408
	s_wait_xcnt 0x0
	s_or_b32 exec_lo, exec_lo, s0
	s_and_saveexec_b32 s0, s19
	s_cbranch_execz .LBB6_87
.LBB6_119:
	global_store_b32 v[32:33], v18, off offset:18432
	s_wait_xcnt 0x0
	s_or_b32 exec_lo, exec_lo, s0
	s_and_saveexec_b32 s0, s20
	s_cbranch_execz .LBB6_88
.LBB6_120:
	global_store_b32 v[32:33], v19, off offset:19456
	s_wait_xcnt 0x0
	s_or_b32 exec_lo, exec_lo, s0
	s_and_saveexec_b32 s0, s21
	s_cbranch_execz .LBB6_89
.LBB6_121:
	global_store_b32 v[32:33], v20, off offset:20480
	s_wait_xcnt 0x0
	s_or_b32 exec_lo, exec_lo, s0
	s_and_saveexec_b32 s0, s22
	s_cbranch_execz .LBB6_90
.LBB6_122:
	global_store_b32 v[32:33], v21, off offset:21504
	s_wait_xcnt 0x0
	s_or_b32 exec_lo, exec_lo, s0
	s_and_saveexec_b32 s0, s23
	s_cbranch_execz .LBB6_91
.LBB6_123:
	global_store_b32 v[32:33], v22, off offset:22528
	s_wait_xcnt 0x0
	s_or_b32 exec_lo, exec_lo, s0
	s_and_saveexec_b32 s0, s24
	s_cbranch_execz .LBB6_92
.LBB6_124:
	global_store_b32 v[32:33], v23, off offset:23552
	s_wait_xcnt 0x0
	s_or_b32 exec_lo, exec_lo, s0
	s_and_saveexec_b32 s0, s25
	s_cbranch_execz .LBB6_93
.LBB6_125:
	global_store_b32 v[32:33], v24, off offset:24576
	s_wait_xcnt 0x0
	s_or_b32 exec_lo, exec_lo, s0
	s_and_saveexec_b32 s0, s26
	s_cbranch_execz .LBB6_94
.LBB6_126:
	global_store_b32 v[32:33], v25, off offset:25600
	s_wait_xcnt 0x0
	s_or_b32 exec_lo, exec_lo, s0
	s_and_saveexec_b32 s0, s27
	s_cbranch_execz .LBB6_95
.LBB6_127:
	global_store_b32 v[32:33], v26, off offset:26624
	s_wait_xcnt 0x0
	s_or_b32 exec_lo, exec_lo, s0
	s_and_saveexec_b32 s0, s28
	s_cbranch_execz .LBB6_96
.LBB6_128:
	global_store_b32 v[32:33], v27, off offset:27648
	s_wait_xcnt 0x0
	s_or_b32 exec_lo, exec_lo, s0
	s_and_saveexec_b32 s0, s29
	s_cbranch_execz .LBB6_97
.LBB6_129:
	global_store_b32 v[32:33], v28, off offset:28672
	s_wait_xcnt 0x0
	s_or_b32 exec_lo, exec_lo, s0
	s_and_saveexec_b32 s0, s30
	s_cbranch_execz .LBB6_98
.LBB6_130:
	global_store_b32 v[32:33], v29, off offset:29696
	s_wait_xcnt 0x0
	s_or_b32 exec_lo, exec_lo, s0
	s_and_saveexec_b32 s0, s31
	s_cbranch_execz .LBB6_99
.LBB6_131:
	global_store_b32 v[32:33], v30, off offset:30720
	s_wait_xcnt 0x0
	s_or_b32 exec_lo, exec_lo, s0
	s_delay_alu instid0(SALU_CYCLE_1)
	s_and_b32 exec_lo, exec_lo, s33
	s_cbranch_execnz .LBB6_100
	s_branch .LBB6_101
	.section	.rodata,"a",@progbits
	.p2align	6, 0x0
	.amdhsa_kernel _Z10pnpoly_optILi32EEvPiPK15HIP_vector_typeIfLj2EES4_i
		.amdhsa_group_segment_fixed_size 0
		.amdhsa_private_segment_fixed_size 0
		.amdhsa_kernarg_size 28
		.amdhsa_user_sgpr_count 2
		.amdhsa_user_sgpr_dispatch_ptr 0
		.amdhsa_user_sgpr_queue_ptr 0
		.amdhsa_user_sgpr_kernarg_segment_ptr 1
		.amdhsa_user_sgpr_dispatch_id 0
		.amdhsa_user_sgpr_kernarg_preload_length 0
		.amdhsa_user_sgpr_kernarg_preload_offset 0
		.amdhsa_user_sgpr_private_segment_size 0
		.amdhsa_wavefront_size32 1
		.amdhsa_uses_dynamic_stack 0
		.amdhsa_enable_private_segment 0
		.amdhsa_system_sgpr_workgroup_id_x 1
		.amdhsa_system_sgpr_workgroup_id_y 0
		.amdhsa_system_sgpr_workgroup_id_z 0
		.amdhsa_system_sgpr_workgroup_info 0
		.amdhsa_system_vgpr_workitem_id 0
		.amdhsa_next_free_vgpr 105
		.amdhsa_next_free_sgpr 44
		.amdhsa_named_barrier_count 0
		.amdhsa_reserve_vcc 1
		.amdhsa_float_round_mode_32 0
		.amdhsa_float_round_mode_16_64 0
		.amdhsa_float_denorm_mode_32 3
		.amdhsa_float_denorm_mode_16_64 3
		.amdhsa_fp16_overflow 0
		.amdhsa_memory_ordered 1
		.amdhsa_forward_progress 1
		.amdhsa_inst_pref_size 44
		.amdhsa_round_robin_scheduling 0
		.amdhsa_exception_fp_ieee_invalid_op 0
		.amdhsa_exception_fp_denorm_src 0
		.amdhsa_exception_fp_ieee_div_zero 0
		.amdhsa_exception_fp_ieee_overflow 0
		.amdhsa_exception_fp_ieee_underflow 0
		.amdhsa_exception_fp_ieee_inexact 0
		.amdhsa_exception_int_div_zero 0
	.end_amdhsa_kernel
	.section	.text._Z10pnpoly_optILi32EEvPiPK15HIP_vector_typeIfLj2EES4_i,"axG",@progbits,_Z10pnpoly_optILi32EEvPiPK15HIP_vector_typeIfLj2EES4_i,comdat
.Lfunc_end6:
	.size	_Z10pnpoly_optILi32EEvPiPK15HIP_vector_typeIfLj2EES4_i, .Lfunc_end6-_Z10pnpoly_optILi32EEvPiPK15HIP_vector_typeIfLj2EES4_i
                                        ; -- End function
	.set _Z10pnpoly_optILi32EEvPiPK15HIP_vector_typeIfLj2EES4_i.num_vgpr, 105
	.set _Z10pnpoly_optILi32EEvPiPK15HIP_vector_typeIfLj2EES4_i.num_agpr, 0
	.set _Z10pnpoly_optILi32EEvPiPK15HIP_vector_typeIfLj2EES4_i.numbered_sgpr, 44
	.set _Z10pnpoly_optILi32EEvPiPK15HIP_vector_typeIfLj2EES4_i.num_named_barrier, 0
	.set _Z10pnpoly_optILi32EEvPiPK15HIP_vector_typeIfLj2EES4_i.private_seg_size, 0
	.set _Z10pnpoly_optILi32EEvPiPK15HIP_vector_typeIfLj2EES4_i.uses_vcc, 1
	.set _Z10pnpoly_optILi32EEvPiPK15HIP_vector_typeIfLj2EES4_i.uses_flat_scratch, 0
	.set _Z10pnpoly_optILi32EEvPiPK15HIP_vector_typeIfLj2EES4_i.has_dyn_sized_stack, 0
	.set _Z10pnpoly_optILi32EEvPiPK15HIP_vector_typeIfLj2EES4_i.has_recursion, 0
	.set _Z10pnpoly_optILi32EEvPiPK15HIP_vector_typeIfLj2EES4_i.has_indirect_call, 0
	.section	.AMDGPU.csdata,"",@progbits
; Kernel info:
; codeLenInByte = 5512
; TotalNumSgprs: 46
; NumVgprs: 105
; ScratchSize: 0
; MemoryBound: 0
; FloatMode: 240
; IeeeMode: 1
; LDSByteSize: 0 bytes/workgroup (compile time only)
; SGPRBlocks: 0
; VGPRBlocks: 6
; NumSGPRsForWavesPerEU: 46
; NumVGPRsForWavesPerEU: 105
; NamedBarCnt: 0
; Occupancy: 9
; WaveLimiterHint : 0
; COMPUTE_PGM_RSRC2:SCRATCH_EN: 0
; COMPUTE_PGM_RSRC2:USER_SGPR: 2
; COMPUTE_PGM_RSRC2:TRAP_HANDLER: 0
; COMPUTE_PGM_RSRC2:TGID_X_EN: 1
; COMPUTE_PGM_RSRC2:TGID_Y_EN: 0
; COMPUTE_PGM_RSRC2:TGID_Z_EN: 0
; COMPUTE_PGM_RSRC2:TIDIG_COMP_CNT: 0
	.section	.text._Z10pnpoly_optILi64EEvPiPK15HIP_vector_typeIfLj2EES4_i,"axG",@progbits,_Z10pnpoly_optILi64EEvPiPK15HIP_vector_typeIfLj2EES4_i,comdat
	.protected	_Z10pnpoly_optILi64EEvPiPK15HIP_vector_typeIfLj2EES4_i ; -- Begin function _Z10pnpoly_optILi64EEvPiPK15HIP_vector_typeIfLj2EES4_i
	.globl	_Z10pnpoly_optILi64EEvPiPK15HIP_vector_typeIfLj2EES4_i
	.p2align	8
	.type	_Z10pnpoly_optILi64EEvPiPK15HIP_vector_typeIfLj2EES4_i,@function
_Z10pnpoly_optILi64EEvPiPK15HIP_vector_typeIfLj2EES4_i: ; @_Z10pnpoly_optILi64EEvPiPK15HIP_vector_typeIfLj2EES4_i
; %bb.0:
	s_load_b32 s65, s[0:1], 0x18
	s_bfe_u32 s2, ttmp6, 0x4000c
	s_and_b32 s3, ttmp6, 15
	s_add_co_i32 s2, s2, 1
	s_getreg_b32 s4, hwreg(HW_REG_IB_STS2, 6, 4)
	s_mul_i32 s2, ttmp9, s2
	s_delay_alu instid0(SALU_CYCLE_1) | instskip(SKIP_2) | instid1(SALU_CYCLE_1)
	s_add_co_i32 s3, s3, s2
	s_cmp_eq_u32 s4, 0
	s_cselect_b32 s2, ttmp9, s3
	v_lshl_or_b32 v4, s2, 14, v0
	s_mov_b32 s2, exec_lo
	s_wait_kmcnt 0x0
	s_delay_alu instid0(VALU_DEP_1)
	v_cmpx_gt_i32_e64 s65, v4
	s_cbranch_execz .LBB7_198
; %bb.1:
	s_load_b64 s[2:3], s[0:1], 0x8
	v_ashrrev_i32_e32 v5, 31, v4
	s_wait_kmcnt 0x0
	global_load_b64 v[0:1], v4, s[2:3] scale_offset
	v_lshl_add_u64 v[2:3], v[4:5], 3, s[2:3]
	s_wait_loadcnt 0x0
	scratch_store_b64 off, v[0:1], off      ; 8-byte Folded Spill
	s_wait_xcnt 0x0
	v_add_nc_u32_e32 v0, 0x100, v4
	s_delay_alu instid0(VALU_DEP_1)
	v_cmp_gt_i32_e64 s2, s65, v0
                                        ; implicit-def: $vgpr0
	scratch_store_b64 off, v[0:1], off offset:8 ; 8-byte Folded Spill
	s_wait_xcnt 0x0
	s_and_saveexec_b32 s3, s2
	s_cbranch_execz .LBB7_3
; %bb.2:
	global_load_b64 v[0:1], v[2:3], off offset:2048
	s_wait_loadcnt 0x0
	scratch_store_b64 off, v[0:1], off offset:8 ; 8-byte Folded Spill
.LBB7_3:
	s_wait_xcnt 0x0
	s_or_b32 exec_lo, exec_lo, s3
	v_add_nc_u32_e32 v0, 0x200, v4
	s_delay_alu instid0(VALU_DEP_1)
	v_cmp_gt_i32_e64 s3, s65, v0
                                        ; implicit-def: $vgpr0
	scratch_store_b64 off, v[0:1], off offset:16 ; 8-byte Folded Spill
	s_wait_xcnt 0x0
	s_and_saveexec_b32 s4, s3
	s_cbranch_execz .LBB7_5
; %bb.4:
	global_load_b64 v[0:1], v[2:3], off offset:4096
	s_wait_loadcnt 0x0
	scratch_store_b64 off, v[0:1], off offset:16 ; 8-byte Folded Spill
.LBB7_5:
	s_wait_xcnt 0x0
	s_or_b32 exec_lo, exec_lo, s4
	v_add_nc_u32_e32 v0, 0x300, v4
	s_delay_alu instid0(VALU_DEP_1)
	v_cmp_gt_i32_e64 s4, s65, v0
                                        ; implicit-def: $vgpr0
	scratch_store_b64 off, v[0:1], off offset:24 ; 8-byte Folded Spill
	s_wait_xcnt 0x0
	s_and_saveexec_b32 s5, s4
	s_cbranch_execz .LBB7_7
; %bb.6:
	global_load_b64 v[0:1], v[2:3], off offset:6144
	s_wait_loadcnt 0x0
	scratch_store_b64 off, v[0:1], off offset:24 ; 8-byte Folded Spill
.LBB7_7:
	s_wait_xcnt 0x0
	s_or_b32 exec_lo, exec_lo, s5
	v_or_b32_e32 v0, 0x400, v4
	s_delay_alu instid0(VALU_DEP_1)
	v_cmp_gt_i32_e64 s5, s65, v0
                                        ; implicit-def: $vgpr0
	scratch_store_b64 off, v[0:1], off offset:32 ; 8-byte Folded Spill
	s_wait_xcnt 0x0
	s_and_saveexec_b32 s6, s5
	s_cbranch_execz .LBB7_9
; %bb.8:
	global_load_b64 v[0:1], v[2:3], off offset:8192
	s_wait_loadcnt 0x0
	scratch_store_b64 off, v[0:1], off offset:32 ; 8-byte Folded Spill
.LBB7_9:
	s_wait_xcnt 0x0
	s_or_b32 exec_lo, exec_lo, s6
	v_add_nc_u32_e32 v0, 0x500, v4
	s_delay_alu instid0(VALU_DEP_1)
	v_cmp_gt_i32_e64 s6, s65, v0
                                        ; implicit-def: $vgpr0
	scratch_store_b64 off, v[0:1], off offset:40 ; 8-byte Folded Spill
	s_wait_xcnt 0x0
	s_and_saveexec_b32 s7, s6
	s_cbranch_execz .LBB7_11
; %bb.10:
	global_load_b64 v[0:1], v[2:3], off offset:10240
	s_wait_loadcnt 0x0
	scratch_store_b64 off, v[0:1], off offset:40 ; 8-byte Folded Spill
.LBB7_11:
	s_wait_xcnt 0x0
	s_or_b32 exec_lo, exec_lo, s7
	v_add_nc_u32_e32 v0, 0x600, v4
	s_delay_alu instid0(VALU_DEP_1)
	v_cmp_gt_i32_e64 s7, s65, v0
                                        ; implicit-def: $vgpr0
	scratch_store_b64 off, v[0:1], off offset:48 ; 8-byte Folded Spill
	s_wait_xcnt 0x0
	s_and_saveexec_b32 s8, s7
	s_cbranch_execz .LBB7_13
; %bb.12:
	global_load_b64 v[0:1], v[2:3], off offset:12288
	s_wait_loadcnt 0x0
	scratch_store_b64 off, v[0:1], off offset:48 ; 8-byte Folded Spill
.LBB7_13:
	s_wait_xcnt 0x0
	s_or_b32 exec_lo, exec_lo, s8
	v_add_nc_u32_e32 v0, 0x700, v4
	s_delay_alu instid0(VALU_DEP_1)
	v_cmp_gt_i32_e64 s8, s65, v0
                                        ; implicit-def: $vgpr0
	scratch_store_b64 off, v[0:1], off offset:56 ; 8-byte Folded Spill
	s_wait_xcnt 0x0
	s_and_saveexec_b32 s9, s8
	s_cbranch_execz .LBB7_15
; %bb.14:
	global_load_b64 v[0:1], v[2:3], off offset:14336
	s_wait_loadcnt 0x0
	scratch_store_b64 off, v[0:1], off offset:56 ; 8-byte Folded Spill
.LBB7_15:
	s_wait_xcnt 0x0
	s_or_b32 exec_lo, exec_lo, s9
	v_or_b32_e32 v0, 0x800, v4
	s_delay_alu instid0(VALU_DEP_1)
	v_cmp_gt_i32_e64 s9, s65, v0
                                        ; implicit-def: $vgpr0
	scratch_store_b64 off, v[0:1], off offset:64 ; 8-byte Folded Spill
	s_wait_xcnt 0x0
	s_and_saveexec_b32 s10, s9
	s_cbranch_execz .LBB7_17
; %bb.16:
	global_load_b64 v[0:1], v[2:3], off offset:16384
	s_wait_loadcnt 0x0
	scratch_store_b64 off, v[0:1], off offset:64 ; 8-byte Folded Spill
.LBB7_17:
	s_wait_xcnt 0x0
	s_or_b32 exec_lo, exec_lo, s10
	;; [unrolled: 60-line block ×8, first 2 shown]
	v_add_nc_u32_e32 v0, 0x2100, v4
	s_delay_alu instid0(VALU_DEP_1)
	v_cmp_gt_i32_e64 s35, s65, v0
                                        ; implicit-def: $vgpr0
	scratch_store_b64 off, v[0:1], off offset:264 ; 8-byte Folded Spill
	s_wait_xcnt 0x0
	s_and_saveexec_b32 s36, s35
	s_cbranch_execz .LBB7_67
; %bb.66:
	global_load_b64 v[0:1], v[2:3], off offset:67584
	s_wait_loadcnt 0x0
	scratch_store_b64 off, v[0:1], off offset:264 ; 8-byte Folded Spill
.LBB7_67:
	s_wait_xcnt 0x0
	s_or_b32 exec_lo, exec_lo, s36
	v_add_nc_u32_e32 v0, 0x2200, v4
	s_delay_alu instid0(VALU_DEP_1)
	v_cmp_gt_i32_e64 s36, s65, v0
                                        ; implicit-def: $vgpr0
	scratch_store_b64 off, v[0:1], off offset:272 ; 8-byte Folded Spill
	s_wait_xcnt 0x0
	s_and_saveexec_b32 s37, s36
	s_cbranch_execz .LBB7_69
; %bb.68:
	global_load_b64 v[0:1], v[2:3], off offset:69632
	s_wait_loadcnt 0x0
	scratch_store_b64 off, v[0:1], off offset:272 ; 8-byte Folded Spill
.LBB7_69:
	s_wait_xcnt 0x0
	s_or_b32 exec_lo, exec_lo, s37
	v_add_nc_u32_e32 v0, 0x2300, v4
                                        ; implicit-def: $vgpr72
	s_delay_alu instid0(VALU_DEP_1)
	v_cmp_gt_i32_e64 s37, s65, v0
	s_and_saveexec_b32 s38, s37
	s_cbranch_execz .LBB7_71
; %bb.70:
	global_load_b64 v[72:73], v[2:3], off offset:71680
.LBB7_71:
	s_wait_xcnt 0x0
	s_or_b32 exec_lo, exec_lo, s38
	v_or_b32_e32 v0, 0x2400, v4
                                        ; implicit-def: $vgpr74
	s_delay_alu instid0(VALU_DEP_1)
	v_cmp_gt_i32_e64 s38, s65, v0
	s_and_saveexec_b32 s39, s38
	s_cbranch_execz .LBB7_73
; %bb.72:
	global_load_b64 v[74:75], v[2:3], off offset:73728
.LBB7_73:
	s_wait_xcnt 0x0
	s_or_b32 exec_lo, exec_lo, s39
	v_add_nc_u32_e32 v0, 0x2500, v4
                                        ; implicit-def: $vgpr76
	s_delay_alu instid0(VALU_DEP_1)
	v_cmp_gt_i32_e64 s39, s65, v0
	s_and_saveexec_b32 s40, s39
	s_cbranch_execz .LBB7_75
; %bb.74:
	global_load_b64 v[76:77], v[2:3], off offset:75776
.LBB7_75:
	s_wait_xcnt 0x0
	s_or_b32 exec_lo, exec_lo, s40
	v_add_nc_u32_e32 v0, 0x2600, v4
                                        ; implicit-def: $vgpr78
	s_delay_alu instid0(VALU_DEP_1)
	v_cmp_gt_i32_e64 s40, s65, v0
	s_and_saveexec_b32 s41, s40
	s_cbranch_execz .LBB7_77
; %bb.76:
	global_load_b64 v[78:79], v[2:3], off offset:77824
.LBB7_77:
	s_wait_xcnt 0x0
	s_or_b32 exec_lo, exec_lo, s41
	v_add_nc_u32_e32 v0, 0x2700, v4
                                        ; implicit-def: $vgpr80
	s_delay_alu instid0(VALU_DEP_1)
	v_cmp_gt_i32_e64 s41, s65, v0
	s_and_saveexec_b32 s42, s41
	s_cbranch_execz .LBB7_79
; %bb.78:
	global_load_b64 v[80:81], v[2:3], off offset:79872
.LBB7_79:
	s_wait_xcnt 0x0
	s_or_b32 exec_lo, exec_lo, s42
	v_or_b32_e32 v0, 0x2800, v4
                                        ; implicit-def: $vgpr82
	s_delay_alu instid0(VALU_DEP_1)
	v_cmp_gt_i32_e64 s42, s65, v0
	s_and_saveexec_b32 s43, s42
	s_cbranch_execz .LBB7_81
; %bb.80:
	global_load_b64 v[82:83], v[2:3], off offset:81920
.LBB7_81:
	s_wait_xcnt 0x0
	s_or_b32 exec_lo, exec_lo, s43
	v_add_nc_u32_e32 v0, 0x2900, v4
                                        ; implicit-def: $vgpr84
	s_delay_alu instid0(VALU_DEP_1)
	v_cmp_gt_i32_e64 s43, s65, v0
	s_and_saveexec_b32 s44, s43
	s_cbranch_execz .LBB7_83
; %bb.82:
	global_load_b64 v[84:85], v[2:3], off offset:83968
.LBB7_83:
	s_wait_xcnt 0x0
	s_or_b32 exec_lo, exec_lo, s44
	v_add_nc_u32_e32 v0, 0x2a00, v4
                                        ; implicit-def: $vgpr86
	s_delay_alu instid0(VALU_DEP_1)
	v_cmp_gt_i32_e64 s44, s65, v0
	s_and_saveexec_b32 s45, s44
	s_cbranch_execz .LBB7_85
; %bb.84:
	global_load_b64 v[86:87], v[2:3], off offset:86016
.LBB7_85:
	s_wait_xcnt 0x0
	s_or_b32 exec_lo, exec_lo, s45
	v_add_nc_u32_e32 v0, 0x2b00, v4
                                        ; implicit-def: $vgpr88
	s_delay_alu instid0(VALU_DEP_1)
	v_cmp_gt_i32_e64 s45, s65, v0
	s_and_saveexec_b32 s46, s45
	s_cbranch_execz .LBB7_87
; %bb.86:
	global_load_b64 v[88:89], v[2:3], off offset:88064
.LBB7_87:
	s_wait_xcnt 0x0
	s_or_b32 exec_lo, exec_lo, s46
	v_or_b32_e32 v0, 0x2c00, v4
                                        ; implicit-def: $vgpr90
	s_delay_alu instid0(VALU_DEP_1)
	v_cmp_gt_i32_e64 s46, s65, v0
	s_and_saveexec_b32 s47, s46
	s_cbranch_execz .LBB7_89
; %bb.88:
	global_load_b64 v[90:91], v[2:3], off offset:90112
.LBB7_89:
	s_wait_xcnt 0x0
	s_or_b32 exec_lo, exec_lo, s47
	v_add_nc_u32_e32 v0, 0x2d00, v4
                                        ; implicit-def: $vgpr92
	s_delay_alu instid0(VALU_DEP_1)
	v_cmp_gt_i32_e64 s47, s65, v0
	s_and_saveexec_b32 s48, s47
	s_cbranch_execz .LBB7_91
; %bb.90:
	global_load_b64 v[92:93], v[2:3], off offset:92160
.LBB7_91:
	s_wait_xcnt 0x0
	s_or_b32 exec_lo, exec_lo, s48
	v_add_nc_u32_e32 v0, 0x2e00, v4
                                        ; implicit-def: $vgpr94
	s_delay_alu instid0(VALU_DEP_1)
	v_cmp_gt_i32_e64 s48, s65, v0
	s_and_saveexec_b32 s49, s48
	s_cbranch_execz .LBB7_93
; %bb.92:
	global_load_b64 v[94:95], v[2:3], off offset:94208
.LBB7_93:
	s_wait_xcnt 0x0
	s_or_b32 exec_lo, exec_lo, s49
	v_add_nc_u32_e32 v0, 0x2f00, v4
                                        ; implicit-def: $vgpr96
	s_delay_alu instid0(VALU_DEP_1)
	v_cmp_gt_i32_e64 s49, s65, v0
	s_and_saveexec_b32 s50, s49
	s_cbranch_execz .LBB7_95
; %bb.94:
	global_load_b64 v[96:97], v[2:3], off offset:96256
.LBB7_95:
	s_wait_xcnt 0x0
	s_or_b32 exec_lo, exec_lo, s50
	v_or_b32_e32 v0, 0x3000, v4
                                        ; implicit-def: $vgpr98
	s_delay_alu instid0(VALU_DEP_1)
	v_cmp_gt_i32_e64 s50, s65, v0
	s_and_saveexec_b32 s51, s50
	s_cbranch_execz .LBB7_97
; %bb.96:
	global_load_b64 v[98:99], v[2:3], off offset:98304
.LBB7_97:
	s_wait_xcnt 0x0
	s_or_b32 exec_lo, exec_lo, s51
	v_add_nc_u32_e32 v0, 0x3100, v4
                                        ; implicit-def: $vgpr100
	s_delay_alu instid0(VALU_DEP_1)
	v_cmp_gt_i32_e64 s51, s65, v0
	s_and_saveexec_b32 s52, s51
	s_cbranch_execz .LBB7_99
; %bb.98:
	global_load_b64 v[100:101], v[2:3], off offset:100352
.LBB7_99:
	s_wait_xcnt 0x0
	s_or_b32 exec_lo, exec_lo, s52
	v_add_nc_u32_e32 v0, 0x3200, v4
                                        ; implicit-def: $vgpr102
	s_delay_alu instid0(VALU_DEP_1)
	v_cmp_gt_i32_e64 s52, s65, v0
	s_and_saveexec_b32 s53, s52
	s_cbranch_execz .LBB7_101
; %bb.100:
	global_load_b64 v[102:103], v[2:3], off offset:102400
.LBB7_101:
	s_wait_xcnt 0x0
	s_or_b32 exec_lo, exec_lo, s53
	v_add_nc_u32_e32 v0, 0x3300, v4
                                        ; implicit-def: $vgpr104
	s_delay_alu instid0(VALU_DEP_1)
	v_cmp_gt_i32_e64 s53, s65, v0
	s_and_saveexec_b32 s54, s53
	s_cbranch_execz .LBB7_103
; %bb.102:
	global_load_b64 v[104:105], v[2:3], off offset:104448
.LBB7_103:
	s_wait_xcnt 0x0
	s_or_b32 exec_lo, exec_lo, s54
	v_or_b32_e32 v0, 0x3400, v4
                                        ; implicit-def: $vgpr106
	s_delay_alu instid0(VALU_DEP_1)
	v_cmp_gt_i32_e64 s54, s65, v0
	s_and_saveexec_b32 s55, s54
	s_cbranch_execz .LBB7_105
; %bb.104:
	global_load_b64 v[106:107], v[2:3], off offset:106496
.LBB7_105:
	s_wait_xcnt 0x0
	s_or_b32 exec_lo, exec_lo, s55
	v_add_nc_u32_e32 v0, 0x3500, v4
                                        ; implicit-def: $vgpr108
	s_delay_alu instid0(VALU_DEP_1)
	v_cmp_gt_i32_e64 s55, s65, v0
	s_and_saveexec_b32 s56, s55
	s_cbranch_execz .LBB7_107
; %bb.106:
	global_load_b64 v[108:109], v[2:3], off offset:108544
.LBB7_107:
	s_wait_xcnt 0x0
	s_or_b32 exec_lo, exec_lo, s56
	v_add_nc_u32_e32 v0, 0x3600, v4
                                        ; implicit-def: $vgpr110
	s_delay_alu instid0(VALU_DEP_1)
	v_cmp_gt_i32_e64 s56, s65, v0
	s_and_saveexec_b32 s57, s56
	s_cbranch_execz .LBB7_109
; %bb.108:
	global_load_b64 v[110:111], v[2:3], off offset:110592
.LBB7_109:
	s_wait_xcnt 0x0
	s_or_b32 exec_lo, exec_lo, s57
	v_add_nc_u32_e32 v0, 0x3700, v4
                                        ; implicit-def: $vgpr112
	s_delay_alu instid0(VALU_DEP_1)
	v_cmp_gt_i32_e64 s57, s65, v0
	s_and_saveexec_b32 s58, s57
	s_cbranch_execz .LBB7_111
; %bb.110:
	global_load_b64 v[112:113], v[2:3], off offset:112640
.LBB7_111:
	s_wait_xcnt 0x0
	s_or_b32 exec_lo, exec_lo, s58
	v_or_b32_e32 v0, 0x3800, v4
                                        ; implicit-def: $vgpr114
	s_delay_alu instid0(VALU_DEP_1)
	v_cmp_gt_i32_e64 s58, s65, v0
	s_and_saveexec_b32 s59, s58
	s_cbranch_execz .LBB7_113
; %bb.112:
	global_load_b64 v[114:115], v[2:3], off offset:114688
.LBB7_113:
	s_wait_xcnt 0x0
	s_or_b32 exec_lo, exec_lo, s59
	v_add_nc_u32_e32 v0, 0x3900, v4
                                        ; implicit-def: $vgpr116
	s_delay_alu instid0(VALU_DEP_1)
	v_cmp_gt_i32_e64 s59, s65, v0
	s_and_saveexec_b32 s60, s59
	s_cbranch_execz .LBB7_115
; %bb.114:
	global_load_b64 v[116:117], v[2:3], off offset:116736
.LBB7_115:
	s_wait_xcnt 0x0
	s_or_b32 exec_lo, exec_lo, s60
	v_add_nc_u32_e32 v0, 0x3a00, v4
                                        ; implicit-def: $vgpr118
	s_delay_alu instid0(VALU_DEP_1)
	v_cmp_gt_i32_e64 s60, s65, v0
	s_and_saveexec_b32 s61, s60
	s_cbranch_execz .LBB7_117
; %bb.116:
	global_load_b64 v[118:119], v[2:3], off offset:118784
.LBB7_117:
	s_wait_xcnt 0x0
	s_or_b32 exec_lo, exec_lo, s61
	v_add_nc_u32_e32 v0, 0x3b00, v4
                                        ; implicit-def: $vgpr120
	s_delay_alu instid0(VALU_DEP_1)
	v_cmp_gt_i32_e64 s61, s65, v0
	s_and_saveexec_b32 s62, s61
	s_cbranch_execz .LBB7_119
; %bb.118:
	global_load_b64 v[120:121], v[2:3], off offset:120832
.LBB7_119:
	s_wait_xcnt 0x0
	s_or_b32 exec_lo, exec_lo, s62
	v_or_b32_e32 v0, 0x3c00, v4
                                        ; implicit-def: $vgpr122
	s_delay_alu instid0(VALU_DEP_1)
	v_cmp_gt_i32_e64 s62, s65, v0
	s_and_saveexec_b32 s63, s62
	s_cbranch_execz .LBB7_121
; %bb.120:
	global_load_b64 v[122:123], v[2:3], off offset:122880
.LBB7_121:
	s_wait_xcnt 0x0
	s_or_b32 exec_lo, exec_lo, s63
	v_add_nc_u32_e32 v0, 0x3d00, v4
                                        ; implicit-def: $vgpr124
	s_delay_alu instid0(VALU_DEP_1)
	v_cmp_gt_i32_e64 s63, s65, v0
	s_and_saveexec_b32 s64, s63
	s_cbranch_execz .LBB7_123
; %bb.122:
	global_load_b64 v[124:125], v[2:3], off offset:124928
.LBB7_123:
	s_wait_xcnt 0x0
	s_or_b32 exec_lo, exec_lo, s64
	s_load_b64 s[66:67], s[0:1], 0x10
	v_add_nc_u32_e32 v0, 0x3e00, v4
                                        ; implicit-def: $vgpr126
	s_delay_alu instid0(VALU_DEP_1)
	v_cmp_gt_i32_e64 s64, s65, v0
	s_and_saveexec_b32 s68, s64
	s_cbranch_execz .LBB7_125
; %bb.124:
	global_load_b64 v[126:127], v[2:3], off offset:126976
.LBB7_125:
	s_wait_xcnt 0x0
	s_or_b32 exec_lo, exec_lo, s68
	v_add_nc_u32_e32 v0, 0x3f00, v4
	s_delay_alu instid0(VALU_DEP_1)
	v_cmp_gt_i32_e64 s65, s65, v0
                                        ; implicit-def: $vgpr0
	s_and_saveexec_b32 s68, s65
	s_cbranch_execz .LBB7_127
; %bb.126:
	global_load_b64 v[0:1], v[2:3], off offset:129024
.LBB7_127:
	s_wait_xcnt 0x0
	s_or_b32 exec_lo, exec_lo, s68
	scratch_store_b64 off, v[4:5], off offset:280 ; 8-byte Folded Spill
	s_load_b64 s[68:69], s[0:1], 0x0
	s_wait_kmcnt 0x0
	s_load_b64 s[0:1], s[66:67], 0x12b8
	v_dual_mov_b32 v2, 0 :: v_dual_mov_b32 v3, 0
	v_dual_mov_b32 v4, 0 :: v_dual_mov_b32 v5, 0
	;; [unrolled: 1-line block ×32, first 2 shown]
	s_mov_b64 s[70:71], 0
	scratch_store_b32 off, v65, off offset:288 ; 4-byte Folded Spill
.LBB7_128:                              ; =>This Inner Loop Header: Depth=1
	s_add_nc_u64 s[72:73], s[66:67], s[70:71]
	s_wait_kmcnt 0x0
	v_mov_b64_e32 v[66:67], s[0:1]
	s_load_b64 s[72:73], s[72:73], 0x0
	s_wait_kmcnt 0x0
	v_mov_b64_e32 v[68:69], s[72:73]
	s_delay_alu instid0(VALU_DEP_1) | instskip(NEXT) | instid1(VALU_DEP_1)
	v_pk_add_f32 v[66:67], v[66:67], v[68:69] neg_lo:[0,1] neg_hi:[0,1]
	v_div_scale_f32 v65, null, v67, v67, v66
	v_div_scale_f32 v70, vcc_lo, v66, v67, v66
	s_delay_alu instid0(VALU_DEP_2)
	v_rcp_f32_e32 v68, v65
	v_nop
	v_xor_b32_e32 v65, 0x80000000, v65
	s_delay_alu instid0(TRANS32_DEP_1) | instid1(VALU_DEP_1)
	v_fma_f32 v69, v65, v68, 1.0
	s_delay_alu instid0(VALU_DEP_1) | instskip(NEXT) | instid1(VALU_DEP_1)
	v_fmac_f32_e32 v68, v69, v68
	v_mul_f32_e32 v69, v70, v68
	s_delay_alu instid0(VALU_DEP_1) | instskip(NEXT) | instid1(VALU_DEP_1)
	v_fma_f32 v71, v65, v69, v70
	v_fmac_f32_e32 v69, v71, v68
	s_delay_alu instid0(VALU_DEP_1) | instskip(NEXT) | instid1(VALU_DEP_1)
	v_fmac_f32_e32 v70, v65, v69
	v_div_fmas_f32 v65, v70, v68, v69
	scratch_load_b64 v[68:69], off, off     ; 8-byte Folded Reload
	v_div_fixup_f32 v65, v65, v67, v66
	s_wait_loadcnt 0x0
	v_cmp_gt_f32_e32 vcc_lo, s73, v69
	v_cmp_ngt_f32_e64 s0, s1, v69
	s_xor_b32 s0, vcc_lo, s0
	s_delay_alu instid0(SALU_CYCLE_1)
	s_xor_b32 s74, s0, -1
	s_wait_xcnt 0x0
	s_mov_b32 s0, exec_lo
	scratch_load_b64 v[68:69], off, off offset:280 ; 8-byte Folded Reload
	s_and_b32 s74, s0, s74
	s_wait_xcnt 0x0
	s_mov_b32 exec_lo, s74
	s_cbranch_execz .LBB7_132
; %bb.129:                              ;   in Loop: Header=BB7_128 Depth=1
	scratch_load_b64 v[70:71], off, off     ; 8-byte Folded Reload
	s_mov_b32 s74, exec_lo
	s_wait_loadcnt 0x0
	v_subrev_f32_e32 v66, s73, v71
	s_delay_alu instid0(VALU_DEP_1) | instskip(SKIP_1) | instid1(VALU_DEP_1)
	v_fma_f32 v66, v65, v66, s72
	s_wait_xcnt 0x0
	v_cmpx_lt_f32_e32 v70, v66
	s_cbranch_execz .LBB7_131
; %bb.130:                              ;   in Loop: Header=BB7_128 Depth=1
	scratch_load_b32 v66, off, off offset:288 th:TH_LOAD_LU ; 4-byte Folded Reload
	s_wait_loadcnt 0x0
	v_cmp_eq_u32_e32 vcc_lo, 0, v66
	v_cndmask_b32_e64 v66, 0, 1, vcc_lo
	scratch_store_b32 off, v66, off offset:288 ; 4-byte Folded Spill
.LBB7_131:                              ;   in Loop: Header=BB7_128 Depth=1
	s_wait_xcnt 0x0
	s_or_b32 exec_lo, exec_lo, s74
.LBB7_132:                              ;   in Loop: Header=BB7_128 Depth=1
	s_delay_alu instid0(SALU_CYCLE_1)
	s_or_b32 exec_lo, exec_lo, s0
	scratch_load_b64 v[70:71], off, off offset:8 ; 8-byte Folded Reload
	s_add_nc_u64 s[70:71], s[70:71], 8
	s_wait_loadcnt 0x0
	v_subrev_f32_e32 v66, s73, v71
	v_cmp_gt_f32_e32 vcc_lo, s73, v71
	v_cmp_ngt_f32_e64 s0, s1, v71
	s_delay_alu instid0(VALU_DEP_3) | instskip(SKIP_1) | instid1(SALU_CYCLE_1)
	v_fma_f32 v66, v65, v66, s72
	s_xor_b32 s0, vcc_lo, s0
	s_xor_b32 s0, s0, -1
	s_delay_alu instid0(VALU_DEP_1) | instskip(SKIP_3) | instid1(VALU_DEP_1)
	v_cmp_lt_f32_e32 vcc_lo, v70, v66
	scratch_load_b64 v[70:71], off, off offset:16 ; 8-byte Folded Reload
	s_and_b32 vcc_lo, s0, vcc_lo
	v_cmp_eq_u32_e64 s0, 0, v64
	v_cndmask_b32_e64 v66, 0, 1, s0
	s_wait_loadcnt 0x0
	s_delay_alu instid0(VALU_DEP_1) | instskip(SKIP_2) | instid1(VALU_DEP_3)
	v_dual_cndmask_b32 v64, v64, v66, vcc_lo :: v_dual_subrev_f32 v66, s73, v71
	v_cmp_gt_f32_e32 vcc_lo, s73, v71
	v_cmp_ngt_f32_e64 s0, s1, v71
	v_fma_f32 v66, v65, v66, s72
	s_xor_b32 s0, vcc_lo, s0
	s_delay_alu instid0(SALU_CYCLE_1) | instskip(NEXT) | instid1(VALU_DEP_1)
	s_xor_b32 s0, s0, -1
	v_cmp_lt_f32_e32 vcc_lo, v70, v66
	scratch_load_b64 v[70:71], off, off offset:24 ; 8-byte Folded Reload
	s_and_b32 vcc_lo, s0, vcc_lo
	v_cmp_eq_u32_e64 s0, 0, v63
	s_delay_alu instid0(VALU_DEP_1) | instskip(SKIP_1) | instid1(VALU_DEP_1)
	v_cndmask_b32_e64 v66, 0, 1, s0
	s_wait_loadcnt 0x0
	v_dual_cndmask_b32 v63, v63, v66 :: v_dual_subrev_f32 v66, s73, v71
	v_cmp_gt_f32_e32 vcc_lo, s73, v71
	v_cmp_ngt_f32_e64 s0, s1, v71
	s_delay_alu instid0(VALU_DEP_3) | instskip(SKIP_1) | instid1(SALU_CYCLE_1)
	v_fma_f32 v66, v65, v66, s72
	s_xor_b32 s0, vcc_lo, s0
	s_xor_b32 s0, s0, -1
	s_delay_alu instid0(VALU_DEP_1) | instskip(SKIP_3) | instid1(VALU_DEP_1)
	v_cmp_lt_f32_e32 vcc_lo, v70, v66
	scratch_load_b64 v[70:71], off, off offset:32 ; 8-byte Folded Reload
	s_and_b32 vcc_lo, s0, vcc_lo
	v_cmp_eq_u32_e64 s0, 0, v62
	v_cndmask_b32_e64 v66, 0, 1, s0
	s_wait_loadcnt 0x0
	s_delay_alu instid0(VALU_DEP_1) | instskip(SKIP_2) | instid1(VALU_DEP_3)
	v_dual_cndmask_b32 v62, v62, v66, vcc_lo :: v_dual_subrev_f32 v66, s73, v71
	v_cmp_gt_f32_e32 vcc_lo, s73, v71
	v_cmp_ngt_f32_e64 s0, s1, v71
	v_fma_f32 v66, v65, v66, s72
	s_xor_b32 s0, vcc_lo, s0
	s_delay_alu instid0(SALU_CYCLE_1) | instskip(NEXT) | instid1(VALU_DEP_1)
	s_xor_b32 s0, s0, -1
	v_cmp_lt_f32_e32 vcc_lo, v70, v66
	scratch_load_b64 v[70:71], off, off offset:40 ; 8-byte Folded Reload
	s_and_b32 vcc_lo, s0, vcc_lo
	v_cmp_eq_u32_e64 s0, 0, v61
	s_delay_alu instid0(VALU_DEP_1) | instskip(SKIP_1) | instid1(VALU_DEP_1)
	v_cndmask_b32_e64 v66, 0, 1, s0
	s_wait_loadcnt 0x0
	v_dual_cndmask_b32 v61, v61, v66 :: v_dual_subrev_f32 v66, s73, v71
	v_cmp_gt_f32_e32 vcc_lo, s73, v71
	v_cmp_ngt_f32_e64 s0, s1, v71
	s_delay_alu instid0(VALU_DEP_3) | instskip(SKIP_1) | instid1(SALU_CYCLE_1)
	v_fma_f32 v66, v65, v66, s72
	s_xor_b32 s0, vcc_lo, s0
	s_xor_b32 s0, s0, -1
	s_delay_alu instid0(VALU_DEP_1) | instskip(SKIP_3) | instid1(VALU_DEP_1)
	v_cmp_lt_f32_e32 vcc_lo, v70, v66
	scratch_load_b64 v[70:71], off, off offset:48 ; 8-byte Folded Reload
	s_and_b32 vcc_lo, s0, vcc_lo
	v_cmp_eq_u32_e64 s0, 0, v60
	v_cndmask_b32_e64 v66, 0, 1, s0
	s_wait_loadcnt 0x0
	s_delay_alu instid0(VALU_DEP_1) | instskip(SKIP_2) | instid1(VALU_DEP_3)
	v_dual_cndmask_b32 v60, v60, v66, vcc_lo :: v_dual_subrev_f32 v66, s73, v71
	v_cmp_gt_f32_e32 vcc_lo, s73, v71
	v_cmp_ngt_f32_e64 s0, s1, v71
	v_fma_f32 v66, v65, v66, s72
	s_xor_b32 s0, vcc_lo, s0
	s_delay_alu instid0(SALU_CYCLE_1) | instskip(NEXT) | instid1(VALU_DEP_1)
	s_xor_b32 s0, s0, -1
	v_cmp_lt_f32_e32 vcc_lo, v70, v66
	scratch_load_b64 v[70:71], off, off offset:56 ; 8-byte Folded Reload
	s_and_b32 vcc_lo, s0, vcc_lo
	v_cmp_eq_u32_e64 s0, 0, v59
	s_delay_alu instid0(VALU_DEP_1) | instskip(SKIP_1) | instid1(VALU_DEP_1)
	v_cndmask_b32_e64 v66, 0, 1, s0
	s_wait_loadcnt 0x0
	v_dual_cndmask_b32 v59, v59, v66 :: v_dual_subrev_f32 v66, s73, v71
	v_cmp_gt_f32_e32 vcc_lo, s73, v71
	v_cmp_ngt_f32_e64 s0, s1, v71
	s_delay_alu instid0(VALU_DEP_3) | instskip(SKIP_1) | instid1(SALU_CYCLE_1)
	v_fma_f32 v66, v65, v66, s72
	s_xor_b32 s0, vcc_lo, s0
	s_xor_b32 s0, s0, -1
	s_delay_alu instid0(VALU_DEP_1) | instskip(SKIP_3) | instid1(VALU_DEP_1)
	v_cmp_lt_f32_e32 vcc_lo, v70, v66
	scratch_load_b64 v[70:71], off, off offset:64 ; 8-byte Folded Reload
	s_and_b32 vcc_lo, s0, vcc_lo
	v_cmp_eq_u32_e64 s0, 0, v58
	v_cndmask_b32_e64 v66, 0, 1, s0
	s_wait_loadcnt 0x0
	s_delay_alu instid0(VALU_DEP_1) | instskip(SKIP_2) | instid1(VALU_DEP_3)
	v_dual_cndmask_b32 v58, v58, v66, vcc_lo :: v_dual_subrev_f32 v66, s73, v71
	v_cmp_gt_f32_e32 vcc_lo, s73, v71
	v_cmp_ngt_f32_e64 s0, s1, v71
	v_fma_f32 v66, v65, v66, s72
	s_xor_b32 s0, vcc_lo, s0
	s_delay_alu instid0(SALU_CYCLE_1) | instskip(NEXT) | instid1(VALU_DEP_1)
	s_xor_b32 s0, s0, -1
	v_cmp_lt_f32_e32 vcc_lo, v70, v66
	scratch_load_b64 v[70:71], off, off offset:72 ; 8-byte Folded Reload
	s_and_b32 vcc_lo, s0, vcc_lo
	v_cmp_eq_u32_e64 s0, 0, v57
	s_delay_alu instid0(VALU_DEP_1) | instskip(SKIP_1) | instid1(VALU_DEP_1)
	v_cndmask_b32_e64 v66, 0, 1, s0
	s_wait_loadcnt 0x0
	v_dual_cndmask_b32 v57, v57, v66 :: v_dual_subrev_f32 v66, s73, v71
	v_cmp_gt_f32_e32 vcc_lo, s73, v71
	v_cmp_ngt_f32_e64 s0, s1, v71
	s_delay_alu instid0(VALU_DEP_3) | instskip(SKIP_1) | instid1(SALU_CYCLE_1)
	v_fma_f32 v66, v65, v66, s72
	s_xor_b32 s0, vcc_lo, s0
	s_xor_b32 s0, s0, -1
	s_delay_alu instid0(VALU_DEP_1) | instskip(SKIP_3) | instid1(VALU_DEP_1)
	v_cmp_lt_f32_e32 vcc_lo, v70, v66
	scratch_load_b64 v[70:71], off, off offset:80 ; 8-byte Folded Reload
	s_and_b32 vcc_lo, s0, vcc_lo
	v_cmp_eq_u32_e64 s0, 0, v56
	v_cndmask_b32_e64 v66, 0, 1, s0
	s_wait_loadcnt 0x0
	s_delay_alu instid0(VALU_DEP_1) | instskip(SKIP_2) | instid1(VALU_DEP_3)
	v_dual_cndmask_b32 v56, v56, v66, vcc_lo :: v_dual_subrev_f32 v66, s73, v71
	v_cmp_gt_f32_e32 vcc_lo, s73, v71
	v_cmp_ngt_f32_e64 s0, s1, v71
	v_fma_f32 v66, v65, v66, s72
	s_xor_b32 s0, vcc_lo, s0
	s_delay_alu instid0(SALU_CYCLE_1) | instskip(NEXT) | instid1(VALU_DEP_1)
	s_xor_b32 s0, s0, -1
	v_cmp_lt_f32_e32 vcc_lo, v70, v66
	scratch_load_b64 v[70:71], off, off offset:88 ; 8-byte Folded Reload
	s_and_b32 vcc_lo, s0, vcc_lo
	v_cmp_eq_u32_e64 s0, 0, v55
	s_delay_alu instid0(VALU_DEP_1) | instskip(SKIP_1) | instid1(VALU_DEP_1)
	v_cndmask_b32_e64 v66, 0, 1, s0
	s_wait_loadcnt 0x0
	v_dual_cndmask_b32 v55, v55, v66 :: v_dual_subrev_f32 v66, s73, v71
	v_cmp_gt_f32_e32 vcc_lo, s73, v71
	v_cmp_ngt_f32_e64 s0, s1, v71
	s_delay_alu instid0(VALU_DEP_3) | instskip(SKIP_1) | instid1(SALU_CYCLE_1)
	v_fma_f32 v66, v65, v66, s72
	s_xor_b32 s0, vcc_lo, s0
	s_xor_b32 s0, s0, -1
	s_delay_alu instid0(VALU_DEP_1) | instskip(SKIP_3) | instid1(VALU_DEP_1)
	v_cmp_lt_f32_e32 vcc_lo, v70, v66
	scratch_load_b64 v[70:71], off, off offset:96 ; 8-byte Folded Reload
	s_and_b32 vcc_lo, s0, vcc_lo
	v_cmp_eq_u32_e64 s0, 0, v54
	v_cndmask_b32_e64 v66, 0, 1, s0
	s_wait_loadcnt 0x0
	s_delay_alu instid0(VALU_DEP_1) | instskip(SKIP_2) | instid1(VALU_DEP_3)
	v_dual_cndmask_b32 v54, v54, v66, vcc_lo :: v_dual_subrev_f32 v66, s73, v71
	v_cmp_gt_f32_e32 vcc_lo, s73, v71
	v_cmp_ngt_f32_e64 s0, s1, v71
	v_fma_f32 v66, v65, v66, s72
	s_xor_b32 s0, vcc_lo, s0
	s_delay_alu instid0(SALU_CYCLE_1) | instskip(NEXT) | instid1(VALU_DEP_1)
	s_xor_b32 s0, s0, -1
	v_cmp_lt_f32_e32 vcc_lo, v70, v66
	scratch_load_b64 v[70:71], off, off offset:104 ; 8-byte Folded Reload
	s_and_b32 vcc_lo, s0, vcc_lo
	v_cmp_eq_u32_e64 s0, 0, v53
	s_delay_alu instid0(VALU_DEP_1) | instskip(SKIP_1) | instid1(VALU_DEP_1)
	v_cndmask_b32_e64 v66, 0, 1, s0
	s_wait_loadcnt 0x0
	v_dual_cndmask_b32 v53, v53, v66 :: v_dual_subrev_f32 v66, s73, v71
	v_cmp_gt_f32_e32 vcc_lo, s73, v71
	v_cmp_ngt_f32_e64 s0, s1, v71
	s_delay_alu instid0(VALU_DEP_3) | instskip(SKIP_1) | instid1(SALU_CYCLE_1)
	v_fma_f32 v66, v65, v66, s72
	s_xor_b32 s0, vcc_lo, s0
	s_xor_b32 s0, s0, -1
	s_delay_alu instid0(VALU_DEP_1) | instskip(SKIP_3) | instid1(VALU_DEP_1)
	v_cmp_lt_f32_e32 vcc_lo, v70, v66
	scratch_load_b64 v[70:71], off, off offset:112 ; 8-byte Folded Reload
	s_and_b32 vcc_lo, s0, vcc_lo
	v_cmp_eq_u32_e64 s0, 0, v52
	v_cndmask_b32_e64 v66, 0, 1, s0
	s_wait_loadcnt 0x0
	s_delay_alu instid0(VALU_DEP_1) | instskip(SKIP_2) | instid1(VALU_DEP_3)
	v_dual_cndmask_b32 v52, v52, v66, vcc_lo :: v_dual_subrev_f32 v66, s73, v71
	v_cmp_gt_f32_e32 vcc_lo, s73, v71
	v_cmp_ngt_f32_e64 s0, s1, v71
	v_fma_f32 v66, v65, v66, s72
	s_xor_b32 s0, vcc_lo, s0
	s_delay_alu instid0(SALU_CYCLE_1) | instskip(NEXT) | instid1(VALU_DEP_1)
	s_xor_b32 s0, s0, -1
	v_cmp_lt_f32_e32 vcc_lo, v70, v66
	scratch_load_b64 v[70:71], off, off offset:120 ; 8-byte Folded Reload
	s_and_b32 vcc_lo, s0, vcc_lo
	v_cmp_eq_u32_e64 s0, 0, v51
	s_delay_alu instid0(VALU_DEP_1) | instskip(SKIP_1) | instid1(VALU_DEP_1)
	v_cndmask_b32_e64 v66, 0, 1, s0
	s_wait_loadcnt 0x0
	v_dual_cndmask_b32 v51, v51, v66 :: v_dual_subrev_f32 v66, s73, v71
	v_cmp_gt_f32_e32 vcc_lo, s73, v71
	v_cmp_ngt_f32_e64 s0, s1, v71
	s_delay_alu instid0(VALU_DEP_3) | instskip(SKIP_1) | instid1(SALU_CYCLE_1)
	v_fma_f32 v66, v65, v66, s72
	s_xor_b32 s0, vcc_lo, s0
	s_xor_b32 s0, s0, -1
	s_delay_alu instid0(VALU_DEP_1) | instskip(SKIP_3) | instid1(VALU_DEP_1)
	v_cmp_lt_f32_e32 vcc_lo, v70, v66
	scratch_load_b64 v[70:71], off, off offset:128 ; 8-byte Folded Reload
	s_and_b32 vcc_lo, s0, vcc_lo
	v_cmp_eq_u32_e64 s0, 0, v50
	v_cndmask_b32_e64 v66, 0, 1, s0
	s_wait_loadcnt 0x0
	s_delay_alu instid0(VALU_DEP_1) | instskip(SKIP_2) | instid1(VALU_DEP_3)
	v_dual_cndmask_b32 v50, v50, v66, vcc_lo :: v_dual_subrev_f32 v66, s73, v71
	v_cmp_gt_f32_e32 vcc_lo, s73, v71
	v_cmp_ngt_f32_e64 s0, s1, v71
	v_fma_f32 v66, v65, v66, s72
	s_xor_b32 s0, vcc_lo, s0
	s_delay_alu instid0(SALU_CYCLE_1) | instskip(NEXT) | instid1(VALU_DEP_1)
	s_xor_b32 s0, s0, -1
	v_cmp_lt_f32_e32 vcc_lo, v70, v66
	scratch_load_b64 v[70:71], off, off offset:136 ; 8-byte Folded Reload
	s_and_b32 vcc_lo, s0, vcc_lo
	v_cmp_eq_u32_e64 s0, 0, v49
	s_delay_alu instid0(VALU_DEP_1) | instskip(SKIP_1) | instid1(VALU_DEP_1)
	v_cndmask_b32_e64 v66, 0, 1, s0
	s_wait_loadcnt 0x0
	v_dual_cndmask_b32 v49, v49, v66 :: v_dual_subrev_f32 v66, s73, v71
	v_cmp_gt_f32_e32 vcc_lo, s73, v71
	v_cmp_ngt_f32_e64 s0, s1, v71
	s_delay_alu instid0(VALU_DEP_3) | instskip(SKIP_1) | instid1(SALU_CYCLE_1)
	v_fma_f32 v66, v65, v66, s72
	s_xor_b32 s0, vcc_lo, s0
	s_xor_b32 s0, s0, -1
	s_delay_alu instid0(VALU_DEP_1) | instskip(SKIP_3) | instid1(VALU_DEP_1)
	v_cmp_lt_f32_e32 vcc_lo, v70, v66
	scratch_load_b64 v[70:71], off, off offset:144 ; 8-byte Folded Reload
	s_and_b32 vcc_lo, s0, vcc_lo
	v_cmp_eq_u32_e64 s0, 0, v48
	v_cndmask_b32_e64 v66, 0, 1, s0
	s_wait_loadcnt 0x0
	s_delay_alu instid0(VALU_DEP_1) | instskip(SKIP_2) | instid1(VALU_DEP_3)
	v_dual_cndmask_b32 v48, v48, v66, vcc_lo :: v_dual_subrev_f32 v66, s73, v71
	v_cmp_gt_f32_e32 vcc_lo, s73, v71
	v_cmp_ngt_f32_e64 s0, s1, v71
	v_fma_f32 v66, v65, v66, s72
	s_xor_b32 s0, vcc_lo, s0
	s_delay_alu instid0(SALU_CYCLE_1) | instskip(NEXT) | instid1(VALU_DEP_1)
	s_xor_b32 s0, s0, -1
	v_cmp_lt_f32_e32 vcc_lo, v70, v66
	scratch_load_b64 v[70:71], off, off offset:152 ; 8-byte Folded Reload
	s_and_b32 vcc_lo, s0, vcc_lo
	v_cmp_eq_u32_e64 s0, 0, v47
	s_delay_alu instid0(VALU_DEP_1) | instskip(SKIP_1) | instid1(VALU_DEP_1)
	v_cndmask_b32_e64 v66, 0, 1, s0
	s_wait_loadcnt 0x0
	v_dual_cndmask_b32 v47, v47, v66 :: v_dual_subrev_f32 v66, s73, v71
	v_cmp_gt_f32_e32 vcc_lo, s73, v71
	v_cmp_ngt_f32_e64 s0, s1, v71
	s_delay_alu instid0(VALU_DEP_3) | instskip(SKIP_1) | instid1(SALU_CYCLE_1)
	v_fma_f32 v66, v65, v66, s72
	s_xor_b32 s0, vcc_lo, s0
	s_xor_b32 s0, s0, -1
	s_delay_alu instid0(VALU_DEP_1) | instskip(SKIP_3) | instid1(VALU_DEP_1)
	v_cmp_lt_f32_e32 vcc_lo, v70, v66
	scratch_load_b64 v[70:71], off, off offset:160 ; 8-byte Folded Reload
	s_and_b32 vcc_lo, s0, vcc_lo
	v_cmp_eq_u32_e64 s0, 0, v46
	v_cndmask_b32_e64 v66, 0, 1, s0
	s_wait_loadcnt 0x0
	s_delay_alu instid0(VALU_DEP_1) | instskip(SKIP_2) | instid1(VALU_DEP_3)
	v_dual_cndmask_b32 v46, v46, v66, vcc_lo :: v_dual_subrev_f32 v66, s73, v71
	v_cmp_gt_f32_e32 vcc_lo, s73, v71
	v_cmp_ngt_f32_e64 s0, s1, v71
	v_fma_f32 v66, v65, v66, s72
	s_xor_b32 s0, vcc_lo, s0
	s_delay_alu instid0(SALU_CYCLE_1) | instskip(NEXT) | instid1(VALU_DEP_1)
	s_xor_b32 s0, s0, -1
	v_cmp_lt_f32_e32 vcc_lo, v70, v66
	scratch_load_b64 v[70:71], off, off offset:168 ; 8-byte Folded Reload
	s_and_b32 vcc_lo, s0, vcc_lo
	v_cmp_eq_u32_e64 s0, 0, v45
	s_delay_alu instid0(VALU_DEP_1) | instskip(SKIP_1) | instid1(VALU_DEP_1)
	v_cndmask_b32_e64 v66, 0, 1, s0
	s_wait_loadcnt 0x0
	v_dual_cndmask_b32 v45, v45, v66 :: v_dual_subrev_f32 v66, s73, v71
	v_cmp_gt_f32_e32 vcc_lo, s73, v71
	v_cmp_ngt_f32_e64 s0, s1, v71
	s_delay_alu instid0(VALU_DEP_3) | instskip(SKIP_1) | instid1(SALU_CYCLE_1)
	v_fma_f32 v66, v65, v66, s72
	s_xor_b32 s0, vcc_lo, s0
	s_xor_b32 s0, s0, -1
	s_delay_alu instid0(VALU_DEP_1) | instskip(SKIP_3) | instid1(VALU_DEP_1)
	v_cmp_lt_f32_e32 vcc_lo, v70, v66
	scratch_load_b64 v[70:71], off, off offset:176 ; 8-byte Folded Reload
	s_and_b32 vcc_lo, s0, vcc_lo
	v_cmp_eq_u32_e64 s0, 0, v44
	v_cndmask_b32_e64 v66, 0, 1, s0
	s_wait_loadcnt 0x0
	s_delay_alu instid0(VALU_DEP_1) | instskip(SKIP_2) | instid1(VALU_DEP_3)
	v_dual_cndmask_b32 v44, v44, v66, vcc_lo :: v_dual_subrev_f32 v66, s73, v71
	v_cmp_gt_f32_e32 vcc_lo, s73, v71
	v_cmp_ngt_f32_e64 s0, s1, v71
	v_fma_f32 v66, v65, v66, s72
	s_xor_b32 s0, vcc_lo, s0
	s_delay_alu instid0(SALU_CYCLE_1) | instskip(NEXT) | instid1(VALU_DEP_1)
	s_xor_b32 s0, s0, -1
	v_cmp_lt_f32_e32 vcc_lo, v70, v66
	scratch_load_b64 v[70:71], off, off offset:184 ; 8-byte Folded Reload
	s_and_b32 vcc_lo, s0, vcc_lo
	v_cmp_eq_u32_e64 s0, 0, v43
	s_delay_alu instid0(VALU_DEP_1) | instskip(SKIP_1) | instid1(VALU_DEP_1)
	v_cndmask_b32_e64 v66, 0, 1, s0
	s_wait_loadcnt 0x0
	v_dual_cndmask_b32 v43, v43, v66 :: v_dual_subrev_f32 v66, s73, v71
	v_cmp_gt_f32_e32 vcc_lo, s73, v71
	v_cmp_ngt_f32_e64 s0, s1, v71
	s_delay_alu instid0(VALU_DEP_3) | instskip(SKIP_1) | instid1(SALU_CYCLE_1)
	v_fma_f32 v66, v65, v66, s72
	s_xor_b32 s0, vcc_lo, s0
	s_xor_b32 s0, s0, -1
	s_delay_alu instid0(VALU_DEP_1) | instskip(SKIP_3) | instid1(VALU_DEP_1)
	v_cmp_lt_f32_e32 vcc_lo, v70, v66
	scratch_load_b64 v[70:71], off, off offset:192 ; 8-byte Folded Reload
	s_and_b32 vcc_lo, s0, vcc_lo
	v_cmp_eq_u32_e64 s0, 0, v42
	v_cndmask_b32_e64 v66, 0, 1, s0
	s_wait_loadcnt 0x0
	s_delay_alu instid0(VALU_DEP_1) | instskip(SKIP_2) | instid1(VALU_DEP_3)
	v_dual_cndmask_b32 v42, v42, v66, vcc_lo :: v_dual_subrev_f32 v66, s73, v71
	v_cmp_gt_f32_e32 vcc_lo, s73, v71
	v_cmp_ngt_f32_e64 s0, s1, v71
	v_fma_f32 v66, v65, v66, s72
	s_xor_b32 s0, vcc_lo, s0
	s_delay_alu instid0(SALU_CYCLE_1) | instskip(NEXT) | instid1(VALU_DEP_1)
	s_xor_b32 s0, s0, -1
	v_cmp_lt_f32_e32 vcc_lo, v70, v66
	scratch_load_b64 v[70:71], off, off offset:200 ; 8-byte Folded Reload
	s_and_b32 vcc_lo, s0, vcc_lo
	v_cmp_eq_u32_e64 s0, 0, v41
	s_delay_alu instid0(VALU_DEP_1) | instskip(SKIP_1) | instid1(VALU_DEP_1)
	v_cndmask_b32_e64 v66, 0, 1, s0
	s_wait_loadcnt 0x0
	v_dual_cndmask_b32 v41, v41, v66 :: v_dual_subrev_f32 v66, s73, v71
	v_cmp_gt_f32_e32 vcc_lo, s73, v71
	v_cmp_ngt_f32_e64 s0, s1, v71
	s_delay_alu instid0(VALU_DEP_3) | instskip(SKIP_1) | instid1(SALU_CYCLE_1)
	v_fma_f32 v66, v65, v66, s72
	s_xor_b32 s0, vcc_lo, s0
	s_xor_b32 s0, s0, -1
	s_delay_alu instid0(VALU_DEP_1) | instskip(SKIP_3) | instid1(VALU_DEP_1)
	v_cmp_lt_f32_e32 vcc_lo, v70, v66
	scratch_load_b64 v[70:71], off, off offset:208 ; 8-byte Folded Reload
	s_and_b32 vcc_lo, s0, vcc_lo
	v_cmp_eq_u32_e64 s0, 0, v40
	v_cndmask_b32_e64 v66, 0, 1, s0
	s_wait_loadcnt 0x0
	s_delay_alu instid0(VALU_DEP_1) | instskip(SKIP_2) | instid1(VALU_DEP_3)
	v_dual_cndmask_b32 v40, v40, v66, vcc_lo :: v_dual_subrev_f32 v66, s73, v71
	v_cmp_gt_f32_e32 vcc_lo, s73, v71
	v_cmp_ngt_f32_e64 s0, s1, v71
	v_fma_f32 v66, v65, v66, s72
	s_xor_b32 s0, vcc_lo, s0
	s_delay_alu instid0(SALU_CYCLE_1) | instskip(NEXT) | instid1(VALU_DEP_1)
	s_xor_b32 s0, s0, -1
	v_cmp_lt_f32_e32 vcc_lo, v70, v66
	scratch_load_b64 v[70:71], off, off offset:216 ; 8-byte Folded Reload
	s_and_b32 vcc_lo, s0, vcc_lo
	v_cmp_eq_u32_e64 s0, 0, v39
	s_delay_alu instid0(VALU_DEP_1) | instskip(SKIP_1) | instid1(VALU_DEP_1)
	v_cndmask_b32_e64 v66, 0, 1, s0
	s_wait_loadcnt 0x0
	v_dual_cndmask_b32 v39, v39, v66 :: v_dual_subrev_f32 v66, s73, v71
	v_cmp_gt_f32_e32 vcc_lo, s73, v71
	v_cmp_ngt_f32_e64 s0, s1, v71
	s_delay_alu instid0(VALU_DEP_3) | instskip(SKIP_1) | instid1(SALU_CYCLE_1)
	v_fma_f32 v66, v65, v66, s72
	s_xor_b32 s0, vcc_lo, s0
	s_xor_b32 s0, s0, -1
	s_delay_alu instid0(VALU_DEP_1) | instskip(SKIP_3) | instid1(VALU_DEP_1)
	v_cmp_lt_f32_e32 vcc_lo, v70, v66
	scratch_load_b64 v[70:71], off, off offset:224 ; 8-byte Folded Reload
	s_and_b32 vcc_lo, s0, vcc_lo
	v_cmp_eq_u32_e64 s0, 0, v38
	v_cndmask_b32_e64 v66, 0, 1, s0
	s_wait_loadcnt 0x0
	s_delay_alu instid0(VALU_DEP_1) | instskip(SKIP_2) | instid1(VALU_DEP_3)
	v_dual_cndmask_b32 v38, v38, v66, vcc_lo :: v_dual_subrev_f32 v66, s73, v71
	v_cmp_gt_f32_e32 vcc_lo, s73, v71
	v_cmp_ngt_f32_e64 s0, s1, v71
	v_fma_f32 v66, v65, v66, s72
	s_xor_b32 s0, vcc_lo, s0
	s_delay_alu instid0(SALU_CYCLE_1) | instskip(NEXT) | instid1(VALU_DEP_1)
	s_xor_b32 s0, s0, -1
	v_cmp_lt_f32_e32 vcc_lo, v70, v66
	scratch_load_b64 v[70:71], off, off offset:232 ; 8-byte Folded Reload
	s_and_b32 vcc_lo, s0, vcc_lo
	v_cmp_eq_u32_e64 s0, 0, v37
	s_delay_alu instid0(VALU_DEP_1) | instskip(SKIP_1) | instid1(VALU_DEP_1)
	v_cndmask_b32_e64 v66, 0, 1, s0
	s_wait_loadcnt 0x0
	v_dual_cndmask_b32 v37, v37, v66 :: v_dual_subrev_f32 v66, s73, v71
	v_cmp_gt_f32_e32 vcc_lo, s73, v71
	v_cmp_ngt_f32_e64 s0, s1, v71
	s_delay_alu instid0(VALU_DEP_3) | instskip(SKIP_1) | instid1(SALU_CYCLE_1)
	v_fma_f32 v66, v65, v66, s72
	s_xor_b32 s0, vcc_lo, s0
	s_xor_b32 s0, s0, -1
	s_delay_alu instid0(VALU_DEP_1) | instskip(SKIP_3) | instid1(VALU_DEP_1)
	v_cmp_lt_f32_e32 vcc_lo, v70, v66
	scratch_load_b64 v[70:71], off, off offset:240 ; 8-byte Folded Reload
	s_and_b32 vcc_lo, s0, vcc_lo
	v_cmp_eq_u32_e64 s0, 0, v36
	v_cndmask_b32_e64 v66, 0, 1, s0
	s_wait_loadcnt 0x0
	s_delay_alu instid0(VALU_DEP_1) | instskip(SKIP_2) | instid1(VALU_DEP_3)
	v_dual_cndmask_b32 v36, v36, v66, vcc_lo :: v_dual_subrev_f32 v66, s73, v71
	v_cmp_gt_f32_e32 vcc_lo, s73, v71
	v_cmp_ngt_f32_e64 s0, s1, v71
	v_fma_f32 v66, v65, v66, s72
	s_xor_b32 s0, vcc_lo, s0
	s_delay_alu instid0(SALU_CYCLE_1) | instskip(NEXT) | instid1(VALU_DEP_1)
	s_xor_b32 s0, s0, -1
	v_cmp_lt_f32_e32 vcc_lo, v70, v66
	scratch_load_b64 v[70:71], off, off offset:248 ; 8-byte Folded Reload
	s_and_b32 vcc_lo, s0, vcc_lo
	v_cmp_eq_u32_e64 s0, 0, v35
	s_delay_alu instid0(VALU_DEP_1) | instskip(SKIP_1) | instid1(VALU_DEP_1)
	v_cndmask_b32_e64 v66, 0, 1, s0
	s_wait_loadcnt 0x0
	v_dual_cndmask_b32 v35, v35, v66 :: v_dual_subrev_f32 v66, s73, v71
	v_cmp_gt_f32_e32 vcc_lo, s73, v71
	v_cmp_ngt_f32_e64 s0, s1, v71
	s_delay_alu instid0(VALU_DEP_3) | instskip(SKIP_1) | instid1(SALU_CYCLE_1)
	v_fma_f32 v66, v65, v66, s72
	s_xor_b32 s0, vcc_lo, s0
	s_xor_b32 s0, s0, -1
	s_delay_alu instid0(VALU_DEP_1) | instskip(SKIP_3) | instid1(VALU_DEP_1)
	v_cmp_lt_f32_e32 vcc_lo, v70, v66
	scratch_load_b64 v[70:71], off, off offset:256 ; 8-byte Folded Reload
	s_and_b32 vcc_lo, s0, vcc_lo
	v_cmp_eq_u32_e64 s0, 0, v34
	v_cndmask_b32_e64 v66, 0, 1, s0
	s_wait_loadcnt 0x0
	s_delay_alu instid0(VALU_DEP_1) | instskip(SKIP_2) | instid1(VALU_DEP_3)
	v_dual_cndmask_b32 v34, v34, v66, vcc_lo :: v_dual_subrev_f32 v66, s73, v71
	v_cmp_gt_f32_e32 vcc_lo, s73, v71
	v_cmp_ngt_f32_e64 s0, s1, v71
	v_fma_f32 v66, v65, v66, s72
	s_xor_b32 s0, vcc_lo, s0
	s_delay_alu instid0(SALU_CYCLE_1) | instskip(NEXT) | instid1(VALU_DEP_1)
	s_xor_b32 s0, s0, -1
	v_cmp_lt_f32_e32 vcc_lo, v70, v66
	scratch_load_b64 v[70:71], off, off offset:264 ; 8-byte Folded Reload
	s_and_b32 vcc_lo, s0, vcc_lo
	v_cmp_eq_u32_e64 s0, 0, v33
	s_delay_alu instid0(VALU_DEP_1) | instskip(SKIP_1) | instid1(VALU_DEP_1)
	v_cndmask_b32_e64 v66, 0, 1, s0
	s_wait_loadcnt 0x0
	v_dual_cndmask_b32 v33, v33, v66 :: v_dual_subrev_f32 v66, s73, v71
	v_cmp_gt_f32_e32 vcc_lo, s73, v71
	v_cmp_ngt_f32_e64 s0, s1, v71
	s_delay_alu instid0(VALU_DEP_3) | instskip(SKIP_1) | instid1(SALU_CYCLE_1)
	v_fma_f32 v66, v65, v66, s72
	s_xor_b32 s0, vcc_lo, s0
	s_xor_b32 s0, s0, -1
	s_delay_alu instid0(VALU_DEP_1) | instskip(SKIP_3) | instid1(VALU_DEP_1)
	v_cmp_lt_f32_e32 vcc_lo, v70, v66
	scratch_load_b64 v[70:71], off, off offset:272 ; 8-byte Folded Reload
	s_and_b32 vcc_lo, s0, vcc_lo
	v_cmp_eq_u32_e64 s0, 0, v32
	v_cndmask_b32_e64 v66, 0, 1, s0
	s_wait_loadcnt 0x0
	s_delay_alu instid0(VALU_DEP_1) | instskip(SKIP_2) | instid1(VALU_DEP_3)
	v_dual_cndmask_b32 v32, v32, v66, vcc_lo :: v_dual_subrev_f32 v66, s73, v71
	v_cmp_gt_f32_e32 vcc_lo, s73, v71
	v_cmp_ngt_f32_e64 s0, s1, v71
	v_fma_f32 v66, v65, v66, s72
	s_xor_b32 s0, vcc_lo, s0
	s_delay_alu instid0(SALU_CYCLE_1) | instskip(NEXT) | instid1(VALU_DEP_1)
	s_xor_b32 s0, s0, -1
	v_cmp_lt_f32_e32 vcc_lo, v70, v66
	s_and_b32 vcc_lo, s0, vcc_lo
	v_cmp_eq_u32_e64 s0, 0, v31
	s_delay_alu instid0(VALU_DEP_1) | instskip(SKIP_1) | instid1(VALU_DEP_2)
	v_cndmask_b32_e64 v66, 0, 1, s0
	v_cmp_ngt_f32_e64 s0, s1, v73
	v_dual_cndmask_b32 v31, v31, v66 :: v_dual_subrev_f32 v66, s73, v73
	v_cmp_gt_f32_e32 vcc_lo, s73, v73
	s_delay_alu instid0(VALU_DEP_2) | instskip(SKIP_1) | instid1(SALU_CYCLE_1)
	v_fma_f32 v66, v65, v66, s72
	s_xor_b32 s0, vcc_lo, s0
	s_xor_b32 s0, s0, -1
	s_delay_alu instid0(VALU_DEP_1) | instskip(SKIP_2) | instid1(VALU_DEP_1)
	v_cmp_lt_f32_e32 vcc_lo, v72, v66
	s_and_b32 vcc_lo, s0, vcc_lo
	v_cmp_eq_u32_e64 s0, 0, v30
	v_cndmask_b32_e64 v66, 0, 1, s0
	v_cmp_ngt_f32_e64 s0, s1, v75
	s_delay_alu instid0(VALU_DEP_2) | instskip(SKIP_1) | instid1(VALU_DEP_2)
	v_dual_cndmask_b32 v30, v30, v66, vcc_lo :: v_dual_subrev_f32 v66, s73, v75
	v_cmp_gt_f32_e32 vcc_lo, s73, v75
	v_fma_f32 v66, v65, v66, s72
	s_xor_b32 s0, vcc_lo, s0
	s_delay_alu instid0(SALU_CYCLE_1) | instskip(NEXT) | instid1(VALU_DEP_1)
	s_xor_b32 s0, s0, -1
	v_cmp_lt_f32_e32 vcc_lo, v74, v66
	s_and_b32 vcc_lo, s0, vcc_lo
	v_cmp_eq_u32_e64 s0, 0, v29
	s_delay_alu instid0(VALU_DEP_1) | instskip(SKIP_1) | instid1(VALU_DEP_2)
	v_cndmask_b32_e64 v66, 0, 1, s0
	v_cmp_ngt_f32_e64 s0, s1, v77
	v_dual_cndmask_b32 v29, v29, v66 :: v_dual_subrev_f32 v66, s73, v77
	v_cmp_gt_f32_e32 vcc_lo, s73, v77
	s_delay_alu instid0(VALU_DEP_2) | instskip(SKIP_1) | instid1(SALU_CYCLE_1)
	v_fma_f32 v66, v65, v66, s72
	s_xor_b32 s0, vcc_lo, s0
	s_xor_b32 s0, s0, -1
	s_delay_alu instid0(VALU_DEP_1) | instskip(SKIP_2) | instid1(VALU_DEP_1)
	v_cmp_lt_f32_e32 vcc_lo, v76, v66
	s_and_b32 vcc_lo, s0, vcc_lo
	v_cmp_eq_u32_e64 s0, 0, v28
	v_cndmask_b32_e64 v66, 0, 1, s0
	v_cmp_ngt_f32_e64 s0, s1, v79
	s_delay_alu instid0(VALU_DEP_2) | instskip(SKIP_1) | instid1(VALU_DEP_2)
	v_dual_cndmask_b32 v28, v28, v66, vcc_lo :: v_dual_subrev_f32 v66, s73, v79
	v_cmp_gt_f32_e32 vcc_lo, s73, v79
	;; [unrolled: 25-line block ×14, first 2 shown]
	v_fma_f32 v66, v65, v66, s72
	s_xor_b32 s0, vcc_lo, s0
	s_delay_alu instid0(SALU_CYCLE_1) | instskip(NEXT) | instid1(VALU_DEP_1)
	s_xor_b32 s0, s0, -1
	v_cmp_lt_f32_e32 vcc_lo, v126, v66
	s_and_b32 vcc_lo, s0, vcc_lo
	v_cmp_eq_u32_e64 s0, 0, v3
	s_delay_alu instid0(VALU_DEP_1) | instskip(SKIP_1) | instid1(VALU_DEP_2)
	v_cndmask_b32_e64 v66, 0, 1, s0
	v_cmp_ngt_f32_e64 s0, s1, v1
	v_dual_cndmask_b32 v3, v3, v66 :: v_dual_subrev_f32 v66, s73, v1
	v_cmp_gt_f32_e32 vcc_lo, s73, v1
	s_delay_alu instid0(VALU_DEP_2) | instskip(SKIP_1) | instid1(SALU_CYCLE_1)
	v_fma_f32 v65, v65, v66, s72
	s_xor_b32 s0, vcc_lo, s0
	s_xor_b32 s0, s0, -1
	s_delay_alu instid0(VALU_DEP_1) | instskip(SKIP_4) | instid1(VALU_DEP_1)
	v_cmp_lt_f32_e32 vcc_lo, v0, v65
	s_and_b32 vcc_lo, s0, vcc_lo
	v_cmp_eq_u32_e64 s0, 0, v2
	s_cmp_lg_u32 s70, 0x12c0
	v_cndmask_b32_e64 v65, 0, 1, s0
	v_cndmask_b32_e32 v2, v2, v65, vcc_lo
	s_cbranch_scc0 .LBB7_134
; %bb.133:                              ;   in Loop: Header=BB7_128 Depth=1
	s_mov_b64 s[0:1], s[72:73]
	s_branch .LBB7_128
.LBB7_134:
	scratch_load_b32 v65, off, off offset:288 th:TH_LOAD_LU ; 4-byte Folded Reload
	v_lshl_add_u64 v[0:1], v[68:69], 2, s[68:69]
	s_wait_loadcnt 0x0
	global_store_b32 v[0:1], v65, off
	s_wait_xcnt 0x0
	s_and_saveexec_b32 s0, s2
	s_cbranch_execnz .LBB7_199
; %bb.135:
	s_or_b32 exec_lo, exec_lo, s0
	s_and_saveexec_b32 s0, s3
	s_cbranch_execnz .LBB7_200
.LBB7_136:
	s_or_b32 exec_lo, exec_lo, s0
	s_and_saveexec_b32 s0, s4
	s_cbranch_execnz .LBB7_201
.LBB7_137:
	s_or_b32 exec_lo, exec_lo, s0
	s_and_saveexec_b32 s0, s5
	s_cbranch_execnz .LBB7_202
.LBB7_138:
	s_or_b32 exec_lo, exec_lo, s0
	s_and_saveexec_b32 s0, s6
	s_cbranch_execnz .LBB7_203
.LBB7_139:
	s_or_b32 exec_lo, exec_lo, s0
	s_and_saveexec_b32 s0, s7
	s_cbranch_execnz .LBB7_204
.LBB7_140:
	s_or_b32 exec_lo, exec_lo, s0
	s_and_saveexec_b32 s0, s8
	s_cbranch_execnz .LBB7_205
.LBB7_141:
	s_or_b32 exec_lo, exec_lo, s0
	s_and_saveexec_b32 s0, s9
	s_cbranch_execnz .LBB7_206
.LBB7_142:
	s_or_b32 exec_lo, exec_lo, s0
	s_and_saveexec_b32 s0, s10
	s_cbranch_execnz .LBB7_207
.LBB7_143:
	s_or_b32 exec_lo, exec_lo, s0
	s_and_saveexec_b32 s0, s11
	s_cbranch_execnz .LBB7_208
.LBB7_144:
	s_or_b32 exec_lo, exec_lo, s0
	s_and_saveexec_b32 s0, s12
	s_cbranch_execnz .LBB7_209
.LBB7_145:
	s_or_b32 exec_lo, exec_lo, s0
	s_and_saveexec_b32 s0, s13
	s_cbranch_execnz .LBB7_210
.LBB7_146:
	s_or_b32 exec_lo, exec_lo, s0
	s_and_saveexec_b32 s0, s14
	s_cbranch_execnz .LBB7_211
.LBB7_147:
	s_or_b32 exec_lo, exec_lo, s0
	s_and_saveexec_b32 s0, s15
	s_cbranch_execnz .LBB7_212
.LBB7_148:
	s_or_b32 exec_lo, exec_lo, s0
	s_and_saveexec_b32 s0, s16
	s_cbranch_execnz .LBB7_213
.LBB7_149:
	s_or_b32 exec_lo, exec_lo, s0
	s_and_saveexec_b32 s0, s17
	s_cbranch_execnz .LBB7_214
.LBB7_150:
	s_or_b32 exec_lo, exec_lo, s0
	s_and_saveexec_b32 s0, s18
	s_cbranch_execnz .LBB7_215
.LBB7_151:
	s_or_b32 exec_lo, exec_lo, s0
	s_and_saveexec_b32 s0, s19
	s_cbranch_execnz .LBB7_216
.LBB7_152:
	s_or_b32 exec_lo, exec_lo, s0
	s_and_saveexec_b32 s0, s20
	s_cbranch_execnz .LBB7_217
.LBB7_153:
	s_or_b32 exec_lo, exec_lo, s0
	s_and_saveexec_b32 s0, s21
	s_cbranch_execnz .LBB7_218
.LBB7_154:
	s_or_b32 exec_lo, exec_lo, s0
	s_and_saveexec_b32 s0, s22
	s_cbranch_execnz .LBB7_219
.LBB7_155:
	s_or_b32 exec_lo, exec_lo, s0
	s_and_saveexec_b32 s0, s23
	s_cbranch_execnz .LBB7_220
.LBB7_156:
	s_or_b32 exec_lo, exec_lo, s0
	s_and_saveexec_b32 s0, s24
	s_cbranch_execnz .LBB7_221
.LBB7_157:
	s_or_b32 exec_lo, exec_lo, s0
	s_and_saveexec_b32 s0, s25
	s_cbranch_execnz .LBB7_222
.LBB7_158:
	s_or_b32 exec_lo, exec_lo, s0
	s_and_saveexec_b32 s0, s26
	s_cbranch_execnz .LBB7_223
.LBB7_159:
	s_or_b32 exec_lo, exec_lo, s0
	s_and_saveexec_b32 s0, s27
	s_cbranch_execnz .LBB7_224
.LBB7_160:
	s_or_b32 exec_lo, exec_lo, s0
	s_and_saveexec_b32 s0, s28
	s_cbranch_execnz .LBB7_225
.LBB7_161:
	s_or_b32 exec_lo, exec_lo, s0
	s_and_saveexec_b32 s0, s29
	s_cbranch_execnz .LBB7_226
.LBB7_162:
	s_or_b32 exec_lo, exec_lo, s0
	s_and_saveexec_b32 s0, s30
	s_cbranch_execnz .LBB7_227
.LBB7_163:
	s_or_b32 exec_lo, exec_lo, s0
	s_and_saveexec_b32 s0, s31
	s_cbranch_execnz .LBB7_228
.LBB7_164:
	s_or_b32 exec_lo, exec_lo, s0
	s_and_saveexec_b32 s0, s33
	s_cbranch_execnz .LBB7_229
.LBB7_165:
	s_or_b32 exec_lo, exec_lo, s0
	s_and_saveexec_b32 s0, s34
	s_cbranch_execnz .LBB7_230
.LBB7_166:
	s_or_b32 exec_lo, exec_lo, s0
	s_and_saveexec_b32 s0, s35
	s_cbranch_execnz .LBB7_231
.LBB7_167:
	s_or_b32 exec_lo, exec_lo, s0
	s_and_saveexec_b32 s0, s36
	s_cbranch_execnz .LBB7_232
.LBB7_168:
	s_or_b32 exec_lo, exec_lo, s0
	s_and_saveexec_b32 s0, s37
	s_cbranch_execnz .LBB7_233
.LBB7_169:
	s_or_b32 exec_lo, exec_lo, s0
	s_and_saveexec_b32 s0, s38
	s_cbranch_execnz .LBB7_234
.LBB7_170:
	s_or_b32 exec_lo, exec_lo, s0
	s_and_saveexec_b32 s0, s39
	s_cbranch_execnz .LBB7_235
.LBB7_171:
	s_or_b32 exec_lo, exec_lo, s0
	s_and_saveexec_b32 s0, s40
	s_cbranch_execnz .LBB7_236
.LBB7_172:
	s_or_b32 exec_lo, exec_lo, s0
	s_and_saveexec_b32 s0, s41
	s_cbranch_execnz .LBB7_237
.LBB7_173:
	s_or_b32 exec_lo, exec_lo, s0
	s_and_saveexec_b32 s0, s42
	s_cbranch_execnz .LBB7_238
.LBB7_174:
	s_or_b32 exec_lo, exec_lo, s0
	s_and_saveexec_b32 s0, s43
	s_cbranch_execnz .LBB7_239
.LBB7_175:
	s_or_b32 exec_lo, exec_lo, s0
	s_and_saveexec_b32 s0, s44
	s_cbranch_execnz .LBB7_240
.LBB7_176:
	s_or_b32 exec_lo, exec_lo, s0
	s_and_saveexec_b32 s0, s45
	s_cbranch_execnz .LBB7_241
.LBB7_177:
	s_or_b32 exec_lo, exec_lo, s0
	s_and_saveexec_b32 s0, s46
	s_cbranch_execnz .LBB7_242
.LBB7_178:
	s_or_b32 exec_lo, exec_lo, s0
	s_and_saveexec_b32 s0, s47
	s_cbranch_execnz .LBB7_243
.LBB7_179:
	s_or_b32 exec_lo, exec_lo, s0
	s_and_saveexec_b32 s0, s48
	s_cbranch_execnz .LBB7_244
.LBB7_180:
	s_or_b32 exec_lo, exec_lo, s0
	s_and_saveexec_b32 s0, s49
	s_cbranch_execnz .LBB7_245
.LBB7_181:
	s_or_b32 exec_lo, exec_lo, s0
	s_and_saveexec_b32 s0, s50
	s_cbranch_execnz .LBB7_246
.LBB7_182:
	s_or_b32 exec_lo, exec_lo, s0
	s_and_saveexec_b32 s0, s51
	s_cbranch_execnz .LBB7_247
.LBB7_183:
	s_or_b32 exec_lo, exec_lo, s0
	s_and_saveexec_b32 s0, s52
	s_cbranch_execnz .LBB7_248
.LBB7_184:
	s_or_b32 exec_lo, exec_lo, s0
	s_and_saveexec_b32 s0, s53
	s_cbranch_execnz .LBB7_249
.LBB7_185:
	s_or_b32 exec_lo, exec_lo, s0
	s_and_saveexec_b32 s0, s54
	s_cbranch_execnz .LBB7_250
.LBB7_186:
	s_or_b32 exec_lo, exec_lo, s0
	s_and_saveexec_b32 s0, s55
	s_cbranch_execnz .LBB7_251
.LBB7_187:
	s_or_b32 exec_lo, exec_lo, s0
	s_and_saveexec_b32 s0, s56
	s_cbranch_execnz .LBB7_252
.LBB7_188:
	s_or_b32 exec_lo, exec_lo, s0
	s_and_saveexec_b32 s0, s57
	s_cbranch_execnz .LBB7_253
.LBB7_189:
	s_or_b32 exec_lo, exec_lo, s0
	s_and_saveexec_b32 s0, s58
	s_cbranch_execnz .LBB7_254
.LBB7_190:
	s_or_b32 exec_lo, exec_lo, s0
	s_and_saveexec_b32 s0, s59
	s_cbranch_execnz .LBB7_255
.LBB7_191:
	s_or_b32 exec_lo, exec_lo, s0
	s_and_saveexec_b32 s0, s60
	s_cbranch_execnz .LBB7_256
.LBB7_192:
	s_or_b32 exec_lo, exec_lo, s0
	s_and_saveexec_b32 s0, s61
	s_cbranch_execnz .LBB7_257
.LBB7_193:
	s_or_b32 exec_lo, exec_lo, s0
	s_and_saveexec_b32 s0, s62
	s_cbranch_execnz .LBB7_258
.LBB7_194:
	s_or_b32 exec_lo, exec_lo, s0
	s_and_saveexec_b32 s0, s63
	s_cbranch_execnz .LBB7_259
.LBB7_195:
	s_or_b32 exec_lo, exec_lo, s0
	s_and_saveexec_b32 s0, s64
	s_cbranch_execnz .LBB7_260
.LBB7_196:
	s_or_b32 exec_lo, exec_lo, s0
	s_delay_alu instid0(SALU_CYCLE_1)
	s_and_b32 exec_lo, exec_lo, s65
	s_cbranch_execz .LBB7_198
.LBB7_197:
	global_store_b32 v[0:1], v2, off offset:64512
.LBB7_198:
	s_sendmsg sendmsg(MSG_DEALLOC_VGPRS)
	s_endpgm
.LBB7_199:
	global_store_b32 v[0:1], v64, off offset:1024
	s_wait_xcnt 0x0
	s_or_b32 exec_lo, exec_lo, s0
	s_and_saveexec_b32 s0, s3
	s_cbranch_execz .LBB7_136
.LBB7_200:
	global_store_b32 v[0:1], v63, off offset:2048
	s_wait_xcnt 0x0
	s_or_b32 exec_lo, exec_lo, s0
	s_and_saveexec_b32 s0, s4
	s_cbranch_execz .LBB7_137
.LBB7_201:
	global_store_b32 v[0:1], v62, off offset:3072
	s_wait_xcnt 0x0
	s_or_b32 exec_lo, exec_lo, s0
	s_and_saveexec_b32 s0, s5
	s_cbranch_execz .LBB7_138
.LBB7_202:
	global_store_b32 v[0:1], v61, off offset:4096
	s_wait_xcnt 0x0
	s_or_b32 exec_lo, exec_lo, s0
	s_and_saveexec_b32 s0, s6
	s_cbranch_execz .LBB7_139
.LBB7_203:
	global_store_b32 v[0:1], v60, off offset:5120
	s_wait_xcnt 0x0
	s_or_b32 exec_lo, exec_lo, s0
	s_and_saveexec_b32 s0, s7
	s_cbranch_execz .LBB7_140
.LBB7_204:
	global_store_b32 v[0:1], v59, off offset:6144
	s_wait_xcnt 0x0
	s_or_b32 exec_lo, exec_lo, s0
	s_and_saveexec_b32 s0, s8
	s_cbranch_execz .LBB7_141
.LBB7_205:
	global_store_b32 v[0:1], v58, off offset:7168
	s_wait_xcnt 0x0
	s_or_b32 exec_lo, exec_lo, s0
	s_and_saveexec_b32 s0, s9
	s_cbranch_execz .LBB7_142
.LBB7_206:
	global_store_b32 v[0:1], v57, off offset:8192
	s_wait_xcnt 0x0
	s_or_b32 exec_lo, exec_lo, s0
	s_and_saveexec_b32 s0, s10
	s_cbranch_execz .LBB7_143
.LBB7_207:
	global_store_b32 v[0:1], v56, off offset:9216
	s_wait_xcnt 0x0
	s_or_b32 exec_lo, exec_lo, s0
	s_and_saveexec_b32 s0, s11
	s_cbranch_execz .LBB7_144
.LBB7_208:
	global_store_b32 v[0:1], v55, off offset:10240
	s_wait_xcnt 0x0
	s_or_b32 exec_lo, exec_lo, s0
	s_and_saveexec_b32 s0, s12
	s_cbranch_execz .LBB7_145
.LBB7_209:
	global_store_b32 v[0:1], v54, off offset:11264
	s_wait_xcnt 0x0
	s_or_b32 exec_lo, exec_lo, s0
	s_and_saveexec_b32 s0, s13
	s_cbranch_execz .LBB7_146
.LBB7_210:
	global_store_b32 v[0:1], v53, off offset:12288
	s_wait_xcnt 0x0
	s_or_b32 exec_lo, exec_lo, s0
	s_and_saveexec_b32 s0, s14
	s_cbranch_execz .LBB7_147
.LBB7_211:
	global_store_b32 v[0:1], v52, off offset:13312
	s_wait_xcnt 0x0
	s_or_b32 exec_lo, exec_lo, s0
	s_and_saveexec_b32 s0, s15
	s_cbranch_execz .LBB7_148
.LBB7_212:
	global_store_b32 v[0:1], v51, off offset:14336
	s_wait_xcnt 0x0
	s_or_b32 exec_lo, exec_lo, s0
	s_and_saveexec_b32 s0, s16
	s_cbranch_execz .LBB7_149
.LBB7_213:
	global_store_b32 v[0:1], v50, off offset:15360
	s_wait_xcnt 0x0
	s_or_b32 exec_lo, exec_lo, s0
	s_and_saveexec_b32 s0, s17
	s_cbranch_execz .LBB7_150
.LBB7_214:
	global_store_b32 v[0:1], v49, off offset:16384
	s_wait_xcnt 0x0
	s_or_b32 exec_lo, exec_lo, s0
	s_and_saveexec_b32 s0, s18
	s_cbranch_execz .LBB7_151
.LBB7_215:
	global_store_b32 v[0:1], v48, off offset:17408
	s_wait_xcnt 0x0
	s_or_b32 exec_lo, exec_lo, s0
	s_and_saveexec_b32 s0, s19
	s_cbranch_execz .LBB7_152
.LBB7_216:
	global_store_b32 v[0:1], v47, off offset:18432
	s_wait_xcnt 0x0
	s_or_b32 exec_lo, exec_lo, s0
	s_and_saveexec_b32 s0, s20
	s_cbranch_execz .LBB7_153
.LBB7_217:
	global_store_b32 v[0:1], v46, off offset:19456
	s_wait_xcnt 0x0
	s_or_b32 exec_lo, exec_lo, s0
	s_and_saveexec_b32 s0, s21
	s_cbranch_execz .LBB7_154
.LBB7_218:
	global_store_b32 v[0:1], v45, off offset:20480
	s_wait_xcnt 0x0
	s_or_b32 exec_lo, exec_lo, s0
	s_and_saveexec_b32 s0, s22
	s_cbranch_execz .LBB7_155
.LBB7_219:
	global_store_b32 v[0:1], v44, off offset:21504
	s_wait_xcnt 0x0
	s_or_b32 exec_lo, exec_lo, s0
	s_and_saveexec_b32 s0, s23
	s_cbranch_execz .LBB7_156
.LBB7_220:
	global_store_b32 v[0:1], v43, off offset:22528
	s_wait_xcnt 0x0
	s_or_b32 exec_lo, exec_lo, s0
	s_and_saveexec_b32 s0, s24
	s_cbranch_execz .LBB7_157
.LBB7_221:
	global_store_b32 v[0:1], v42, off offset:23552
	s_wait_xcnt 0x0
	s_or_b32 exec_lo, exec_lo, s0
	s_and_saveexec_b32 s0, s25
	s_cbranch_execz .LBB7_158
.LBB7_222:
	global_store_b32 v[0:1], v41, off offset:24576
	s_wait_xcnt 0x0
	s_or_b32 exec_lo, exec_lo, s0
	s_and_saveexec_b32 s0, s26
	s_cbranch_execz .LBB7_159
.LBB7_223:
	global_store_b32 v[0:1], v40, off offset:25600
	s_wait_xcnt 0x0
	s_or_b32 exec_lo, exec_lo, s0
	s_and_saveexec_b32 s0, s27
	s_cbranch_execz .LBB7_160
.LBB7_224:
	global_store_b32 v[0:1], v39, off offset:26624
	s_wait_xcnt 0x0
	s_or_b32 exec_lo, exec_lo, s0
	s_and_saveexec_b32 s0, s28
	s_cbranch_execz .LBB7_161
.LBB7_225:
	global_store_b32 v[0:1], v38, off offset:27648
	s_wait_xcnt 0x0
	s_or_b32 exec_lo, exec_lo, s0
	s_and_saveexec_b32 s0, s29
	s_cbranch_execz .LBB7_162
.LBB7_226:
	global_store_b32 v[0:1], v37, off offset:28672
	s_wait_xcnt 0x0
	s_or_b32 exec_lo, exec_lo, s0
	s_and_saveexec_b32 s0, s30
	s_cbranch_execz .LBB7_163
.LBB7_227:
	global_store_b32 v[0:1], v36, off offset:29696
	s_wait_xcnt 0x0
	s_or_b32 exec_lo, exec_lo, s0
	s_and_saveexec_b32 s0, s31
	s_cbranch_execz .LBB7_164
.LBB7_228:
	global_store_b32 v[0:1], v35, off offset:30720
	s_wait_xcnt 0x0
	s_or_b32 exec_lo, exec_lo, s0
	s_and_saveexec_b32 s0, s33
	s_cbranch_execz .LBB7_165
.LBB7_229:
	global_store_b32 v[0:1], v34, off offset:31744
	s_wait_xcnt 0x0
	s_or_b32 exec_lo, exec_lo, s0
	s_and_saveexec_b32 s0, s34
	s_cbranch_execz .LBB7_166
.LBB7_230:
	global_store_b32 v[0:1], v33, off offset:32768
	s_wait_xcnt 0x0
	s_or_b32 exec_lo, exec_lo, s0
	s_and_saveexec_b32 s0, s35
	s_cbranch_execz .LBB7_167
.LBB7_231:
	global_store_b32 v[0:1], v32, off offset:33792
	s_wait_xcnt 0x0
	s_or_b32 exec_lo, exec_lo, s0
	s_and_saveexec_b32 s0, s36
	s_cbranch_execz .LBB7_168
.LBB7_232:
	global_store_b32 v[0:1], v31, off offset:34816
	s_wait_xcnt 0x0
	s_or_b32 exec_lo, exec_lo, s0
	s_and_saveexec_b32 s0, s37
	s_cbranch_execz .LBB7_169
.LBB7_233:
	global_store_b32 v[0:1], v30, off offset:35840
	s_wait_xcnt 0x0
	s_or_b32 exec_lo, exec_lo, s0
	s_and_saveexec_b32 s0, s38
	s_cbranch_execz .LBB7_170
.LBB7_234:
	global_store_b32 v[0:1], v29, off offset:36864
	s_wait_xcnt 0x0
	s_or_b32 exec_lo, exec_lo, s0
	s_and_saveexec_b32 s0, s39
	s_cbranch_execz .LBB7_171
.LBB7_235:
	global_store_b32 v[0:1], v28, off offset:37888
	s_wait_xcnt 0x0
	s_or_b32 exec_lo, exec_lo, s0
	s_and_saveexec_b32 s0, s40
	s_cbranch_execz .LBB7_172
.LBB7_236:
	global_store_b32 v[0:1], v27, off offset:38912
	s_wait_xcnt 0x0
	s_or_b32 exec_lo, exec_lo, s0
	s_and_saveexec_b32 s0, s41
	s_cbranch_execz .LBB7_173
.LBB7_237:
	global_store_b32 v[0:1], v26, off offset:39936
	s_wait_xcnt 0x0
	s_or_b32 exec_lo, exec_lo, s0
	s_and_saveexec_b32 s0, s42
	s_cbranch_execz .LBB7_174
.LBB7_238:
	global_store_b32 v[0:1], v25, off offset:40960
	s_wait_xcnt 0x0
	s_or_b32 exec_lo, exec_lo, s0
	s_and_saveexec_b32 s0, s43
	s_cbranch_execz .LBB7_175
.LBB7_239:
	global_store_b32 v[0:1], v24, off offset:41984
	s_wait_xcnt 0x0
	s_or_b32 exec_lo, exec_lo, s0
	s_and_saveexec_b32 s0, s44
	s_cbranch_execz .LBB7_176
.LBB7_240:
	global_store_b32 v[0:1], v23, off offset:43008
	s_wait_xcnt 0x0
	s_or_b32 exec_lo, exec_lo, s0
	s_and_saveexec_b32 s0, s45
	s_cbranch_execz .LBB7_177
.LBB7_241:
	global_store_b32 v[0:1], v22, off offset:44032
	s_wait_xcnt 0x0
	s_or_b32 exec_lo, exec_lo, s0
	s_and_saveexec_b32 s0, s46
	s_cbranch_execz .LBB7_178
.LBB7_242:
	global_store_b32 v[0:1], v21, off offset:45056
	s_wait_xcnt 0x0
	s_or_b32 exec_lo, exec_lo, s0
	s_and_saveexec_b32 s0, s47
	s_cbranch_execz .LBB7_179
.LBB7_243:
	global_store_b32 v[0:1], v20, off offset:46080
	s_wait_xcnt 0x0
	s_or_b32 exec_lo, exec_lo, s0
	s_and_saveexec_b32 s0, s48
	s_cbranch_execz .LBB7_180
.LBB7_244:
	global_store_b32 v[0:1], v19, off offset:47104
	s_wait_xcnt 0x0
	s_or_b32 exec_lo, exec_lo, s0
	s_and_saveexec_b32 s0, s49
	s_cbranch_execz .LBB7_181
.LBB7_245:
	global_store_b32 v[0:1], v18, off offset:48128
	s_wait_xcnt 0x0
	s_or_b32 exec_lo, exec_lo, s0
	s_and_saveexec_b32 s0, s50
	s_cbranch_execz .LBB7_182
.LBB7_246:
	global_store_b32 v[0:1], v17, off offset:49152
	s_wait_xcnt 0x0
	s_or_b32 exec_lo, exec_lo, s0
	s_and_saveexec_b32 s0, s51
	s_cbranch_execz .LBB7_183
.LBB7_247:
	global_store_b32 v[0:1], v16, off offset:50176
	s_wait_xcnt 0x0
	s_or_b32 exec_lo, exec_lo, s0
	s_and_saveexec_b32 s0, s52
	s_cbranch_execz .LBB7_184
.LBB7_248:
	global_store_b32 v[0:1], v15, off offset:51200
	s_wait_xcnt 0x0
	s_or_b32 exec_lo, exec_lo, s0
	s_and_saveexec_b32 s0, s53
	s_cbranch_execz .LBB7_185
.LBB7_249:
	global_store_b32 v[0:1], v14, off offset:52224
	s_wait_xcnt 0x0
	s_or_b32 exec_lo, exec_lo, s0
	s_and_saveexec_b32 s0, s54
	s_cbranch_execz .LBB7_186
.LBB7_250:
	global_store_b32 v[0:1], v13, off offset:53248
	s_wait_xcnt 0x0
	s_or_b32 exec_lo, exec_lo, s0
	s_and_saveexec_b32 s0, s55
	s_cbranch_execz .LBB7_187
.LBB7_251:
	global_store_b32 v[0:1], v12, off offset:54272
	s_wait_xcnt 0x0
	s_or_b32 exec_lo, exec_lo, s0
	s_and_saveexec_b32 s0, s56
	s_cbranch_execz .LBB7_188
.LBB7_252:
	global_store_b32 v[0:1], v11, off offset:55296
	s_wait_xcnt 0x0
	s_or_b32 exec_lo, exec_lo, s0
	s_and_saveexec_b32 s0, s57
	s_cbranch_execz .LBB7_189
.LBB7_253:
	global_store_b32 v[0:1], v10, off offset:56320
	s_wait_xcnt 0x0
	s_or_b32 exec_lo, exec_lo, s0
	s_and_saveexec_b32 s0, s58
	s_cbranch_execz .LBB7_190
.LBB7_254:
	global_store_b32 v[0:1], v9, off offset:57344
	s_wait_xcnt 0x0
	s_or_b32 exec_lo, exec_lo, s0
	s_and_saveexec_b32 s0, s59
	s_cbranch_execz .LBB7_191
.LBB7_255:
	global_store_b32 v[0:1], v8, off offset:58368
	s_wait_xcnt 0x0
	s_or_b32 exec_lo, exec_lo, s0
	s_and_saveexec_b32 s0, s60
	s_cbranch_execz .LBB7_192
.LBB7_256:
	global_store_b32 v[0:1], v7, off offset:59392
	s_wait_xcnt 0x0
	s_or_b32 exec_lo, exec_lo, s0
	s_and_saveexec_b32 s0, s61
	s_cbranch_execz .LBB7_193
.LBB7_257:
	global_store_b32 v[0:1], v6, off offset:60416
	s_wait_xcnt 0x0
	s_or_b32 exec_lo, exec_lo, s0
	s_and_saveexec_b32 s0, s62
	s_cbranch_execz .LBB7_194
.LBB7_258:
	global_store_b32 v[0:1], v5, off offset:61440
	s_wait_xcnt 0x0
	s_or_b32 exec_lo, exec_lo, s0
	s_and_saveexec_b32 s0, s63
	s_cbranch_execz .LBB7_195
.LBB7_259:
	global_store_b32 v[0:1], v4, off offset:62464
	s_wait_xcnt 0x0
	s_or_b32 exec_lo, exec_lo, s0
	s_and_saveexec_b32 s0, s64
	s_cbranch_execz .LBB7_196
.LBB7_260:
	global_store_b32 v[0:1], v3, off offset:63488
	s_wait_xcnt 0x0
	s_or_b32 exec_lo, exec_lo, s0
	s_delay_alu instid0(SALU_CYCLE_1)
	s_and_b32 exec_lo, exec_lo, s65
	s_cbranch_execnz .LBB7_197
	s_branch .LBB7_198
	.section	.rodata,"a",@progbits
	.p2align	6, 0x0
	.amdhsa_kernel _Z10pnpoly_optILi64EEvPiPK15HIP_vector_typeIfLj2EES4_i
		.amdhsa_group_segment_fixed_size 0
		.amdhsa_private_segment_fixed_size 296
		.amdhsa_kernarg_size 28
		.amdhsa_user_sgpr_count 2
		.amdhsa_user_sgpr_dispatch_ptr 0
		.amdhsa_user_sgpr_queue_ptr 0
		.amdhsa_user_sgpr_kernarg_segment_ptr 1
		.amdhsa_user_sgpr_dispatch_id 0
		.amdhsa_user_sgpr_kernarg_preload_length 0
		.amdhsa_user_sgpr_kernarg_preload_offset 0
		.amdhsa_user_sgpr_private_segment_size 0
		.amdhsa_wavefront_size32 1
		.amdhsa_uses_dynamic_stack 0
		.amdhsa_enable_private_segment 1
		.amdhsa_system_sgpr_workgroup_id_x 1
		.amdhsa_system_sgpr_workgroup_id_y 0
		.amdhsa_system_sgpr_workgroup_id_z 0
		.amdhsa_system_sgpr_workgroup_info 0
		.amdhsa_system_vgpr_workitem_id 0
		.amdhsa_next_free_vgpr 128
		.amdhsa_next_free_sgpr 75
		.amdhsa_named_barrier_count 0
		.amdhsa_reserve_vcc 1
		.amdhsa_float_round_mode_32 0
		.amdhsa_float_round_mode_16_64 0
		.amdhsa_float_denorm_mode_32 3
		.amdhsa_float_denorm_mode_16_64 3
		.amdhsa_fp16_overflow 0
		.amdhsa_memory_ordered 1
		.amdhsa_forward_progress 1
		.amdhsa_inst_pref_size 98
		.amdhsa_round_robin_scheduling 0
		.amdhsa_exception_fp_ieee_invalid_op 0
		.amdhsa_exception_fp_denorm_src 0
		.amdhsa_exception_fp_ieee_div_zero 0
		.amdhsa_exception_fp_ieee_overflow 0
		.amdhsa_exception_fp_ieee_underflow 0
		.amdhsa_exception_fp_ieee_inexact 0
		.amdhsa_exception_int_div_zero 0
	.end_amdhsa_kernel
	.section	.text._Z10pnpoly_optILi64EEvPiPK15HIP_vector_typeIfLj2EES4_i,"axG",@progbits,_Z10pnpoly_optILi64EEvPiPK15HIP_vector_typeIfLj2EES4_i,comdat
.Lfunc_end7:
	.size	_Z10pnpoly_optILi64EEvPiPK15HIP_vector_typeIfLj2EES4_i, .Lfunc_end7-_Z10pnpoly_optILi64EEvPiPK15HIP_vector_typeIfLj2EES4_i
                                        ; -- End function
	.set _Z10pnpoly_optILi64EEvPiPK15HIP_vector_typeIfLj2EES4_i.num_vgpr, 128
	.set _Z10pnpoly_optILi64EEvPiPK15HIP_vector_typeIfLj2EES4_i.num_agpr, 0
	.set _Z10pnpoly_optILi64EEvPiPK15HIP_vector_typeIfLj2EES4_i.numbered_sgpr, 75
	.set _Z10pnpoly_optILi64EEvPiPK15HIP_vector_typeIfLj2EES4_i.num_named_barrier, 0
	.set _Z10pnpoly_optILi64EEvPiPK15HIP_vector_typeIfLj2EES4_i.private_seg_size, 296
	.set _Z10pnpoly_optILi64EEvPiPK15HIP_vector_typeIfLj2EES4_i.uses_vcc, 1
	.set _Z10pnpoly_optILi64EEvPiPK15HIP_vector_typeIfLj2EES4_i.uses_flat_scratch, 0
	.set _Z10pnpoly_optILi64EEvPiPK15HIP_vector_typeIfLj2EES4_i.has_dyn_sized_stack, 0
	.set _Z10pnpoly_optILi64EEvPiPK15HIP_vector_typeIfLj2EES4_i.has_recursion, 0
	.set _Z10pnpoly_optILi64EEvPiPK15HIP_vector_typeIfLj2EES4_i.has_indirect_call, 0
	.section	.AMDGPU.csdata,"",@progbits
; Kernel info:
; codeLenInByte = 12540
; TotalNumSgprs: 77
; NumVgprs: 128
; ScratchSize: 296
; MemoryBound: 0
; FloatMode: 240
; IeeeMode: 1
; LDSByteSize: 0 bytes/workgroup (compile time only)
; SGPRBlocks: 0
; VGPRBlocks: 7
; NumSGPRsForWavesPerEU: 77
; NumVGPRsForWavesPerEU: 128
; NamedBarCnt: 0
; Occupancy: 8
; WaveLimiterHint : 0
; COMPUTE_PGM_RSRC2:SCRATCH_EN: 1
; COMPUTE_PGM_RSRC2:USER_SGPR: 2
; COMPUTE_PGM_RSRC2:TRAP_HANDLER: 0
; COMPUTE_PGM_RSRC2:TGID_X_EN: 1
; COMPUTE_PGM_RSRC2:TGID_Y_EN: 0
; COMPUTE_PGM_RSRC2:TGID_Z_EN: 0
; COMPUTE_PGM_RSRC2:TIDIG_COMP_CNT: 0
	.text
	.p2alignl 7, 3214868480
	.fill 96, 4, 3214868480
	.section	.AMDGPU.gpr_maximums,"",@progbits
	.set amdgpu.max_num_vgpr, 0
	.set amdgpu.max_num_agpr, 0
	.set amdgpu.max_num_sgpr, 0
	.text
	.type	__hip_cuid_64c6df756faad4b,@object ; @__hip_cuid_64c6df756faad4b
	.section	.bss,"aw",@nobits
	.globl	__hip_cuid_64c6df756faad4b
__hip_cuid_64c6df756faad4b:
	.byte	0                               ; 0x0
	.size	__hip_cuid_64c6df756faad4b, 1

	.ident	"AMD clang version 22.0.0git (https://github.com/RadeonOpenCompute/llvm-project roc-7.2.4 26084 f58b06dce1f9c15707c5f808fd002e18c2accf7e)"
	.section	".note.GNU-stack","",@progbits
	.addrsig
	.addrsig_sym __hip_cuid_64c6df756faad4b
	.amdgpu_metadata
---
amdhsa.kernels:
  - .args:
      - .actual_access:  write_only
        .address_space:  global
        .offset:         0
        .size:           8
        .value_kind:     global_buffer
      - .actual_access:  read_only
        .address_space:  global
        .offset:         8
        .size:           8
        .value_kind:     global_buffer
      - .actual_access:  read_only
        .address_space:  global
        .offset:         16
        .size:           8
        .value_kind:     global_buffer
      - .offset:         24
        .size:           4
        .value_kind:     by_value
      - .offset:         32
        .size:           4
        .value_kind:     hidden_block_count_x
      - .offset:         36
        .size:           4
        .value_kind:     hidden_block_count_y
      - .offset:         40
        .size:           4
        .value_kind:     hidden_block_count_z
      - .offset:         44
        .size:           2
        .value_kind:     hidden_group_size_x
      - .offset:         46
        .size:           2
        .value_kind:     hidden_group_size_y
      - .offset:         48
        .size:           2
        .value_kind:     hidden_group_size_z
      - .offset:         50
        .size:           2
        .value_kind:     hidden_remainder_x
      - .offset:         52
        .size:           2
        .value_kind:     hidden_remainder_y
      - .offset:         54
        .size:           2
        .value_kind:     hidden_remainder_z
      - .offset:         72
        .size:           8
        .value_kind:     hidden_global_offset_x
      - .offset:         80
        .size:           8
        .value_kind:     hidden_global_offset_y
      - .offset:         88
        .size:           8
        .value_kind:     hidden_global_offset_z
      - .offset:         96
        .size:           2
        .value_kind:     hidden_grid_dims
    .group_segment_fixed_size: 0
    .kernarg_segment_align: 8
    .kernarg_segment_size: 288
    .language:       OpenCL C
    .language_version:
      - 2
      - 0
    .max_flat_workgroup_size: 1024
    .name:           _Z11pnpoly_basePiPK15HIP_vector_typeIfLj2EES3_i
    .private_segment_fixed_size: 0
    .sgpr_count:     20
    .sgpr_spill_count: 0
    .symbol:         _Z11pnpoly_basePiPK15HIP_vector_typeIfLj2EES3_i.kd
    .uniform_work_group_size: 1
    .uses_dynamic_stack: false
    .vgpr_count:     13
    .vgpr_spill_count: 0
    .wavefront_size: 32
  - .args:
      - .actual_access:  write_only
        .address_space:  global
        .offset:         0
        .size:           8
        .value_kind:     global_buffer
      - .actual_access:  read_only
        .address_space:  global
        .offset:         8
        .size:           8
        .value_kind:     global_buffer
      - .actual_access:  read_only
        .address_space:  global
        .offset:         16
        .size:           8
        .value_kind:     global_buffer
      - .offset:         24
        .size:           4
        .value_kind:     by_value
    .group_segment_fixed_size: 0
    .kernarg_segment_align: 8
    .kernarg_segment_size: 28
    .language:       OpenCL C
    .language_version:
      - 2
      - 0
    .max_flat_workgroup_size: 1024
    .name:           _Z10pnpoly_optILi1EEvPiPK15HIP_vector_typeIfLj2EES4_i
    .private_segment_fixed_size: 0
    .sgpr_count:     32
    .sgpr_spill_count: 0
    .symbol:         _Z10pnpoly_optILi1EEvPiPK15HIP_vector_typeIfLj2EES4_i.kd
    .uniform_work_group_size: 1
    .uses_dynamic_stack: false
    .vgpr_count:     44
    .vgpr_spill_count: 0
    .wavefront_size: 32
  - .args:
      - .actual_access:  write_only
        .address_space:  global
        .offset:         0
        .size:           8
        .value_kind:     global_buffer
      - .actual_access:  read_only
        .address_space:  global
        .offset:         8
        .size:           8
        .value_kind:     global_buffer
      - .actual_access:  read_only
        .address_space:  global
        .offset:         16
        .size:           8
        .value_kind:     global_buffer
      - .offset:         24
        .size:           4
        .value_kind:     by_value
    .group_segment_fixed_size: 0
    .kernarg_segment_align: 8
    .kernarg_segment_size: 28
    .language:       OpenCL C
    .language_version:
      - 2
      - 0
    .max_flat_workgroup_size: 1024
    .name:           _Z10pnpoly_optILi2EEvPiPK15HIP_vector_typeIfLj2EES4_i
    .private_segment_fixed_size: 0
    .sgpr_count:     18
    .sgpr_spill_count: 0
    .symbol:         _Z10pnpoly_optILi2EEvPiPK15HIP_vector_typeIfLj2EES4_i.kd
    .uniform_work_group_size: 1
    .uses_dynamic_stack: false
    .vgpr_count:     17
    .vgpr_spill_count: 0
    .wavefront_size: 32
  - .args:
      - .actual_access:  write_only
        .address_space:  global
        .offset:         0
        .size:           8
        .value_kind:     global_buffer
      - .actual_access:  read_only
        .address_space:  global
        .offset:         8
        .size:           8
        .value_kind:     global_buffer
      - .actual_access:  read_only
        .address_space:  global
        .offset:         16
        .size:           8
        .value_kind:     global_buffer
      - .offset:         24
        .size:           4
        .value_kind:     by_value
    .group_segment_fixed_size: 0
    .kernarg_segment_align: 8
    .kernarg_segment_size: 28
    .language:       OpenCL C
    .language_version:
      - 2
      - 0
    .max_flat_workgroup_size: 1024
    .name:           _Z10pnpoly_optILi4EEvPiPK15HIP_vector_typeIfLj2EES4_i
    .private_segment_fixed_size: 0
    .sgpr_count:     18
    .sgpr_spill_count: 0
    .symbol:         _Z10pnpoly_optILi4EEvPiPK15HIP_vector_typeIfLj2EES4_i.kd
    .uniform_work_group_size: 1
    .uses_dynamic_stack: false
    .vgpr_count:     21
    .vgpr_spill_count: 0
    .wavefront_size: 32
  - .args:
      - .actual_access:  write_only
        .address_space:  global
        .offset:         0
        .size:           8
        .value_kind:     global_buffer
      - .actual_access:  read_only
        .address_space:  global
        .offset:         8
        .size:           8
        .value_kind:     global_buffer
      - .actual_access:  read_only
        .address_space:  global
        .offset:         16
        .size:           8
        .value_kind:     global_buffer
      - .offset:         24
        .size:           4
        .value_kind:     by_value
    .group_segment_fixed_size: 0
    .kernarg_segment_align: 8
    .kernarg_segment_size: 28
    .language:       OpenCL C
    .language_version:
      - 2
      - 0
    .max_flat_workgroup_size: 1024
    .name:           _Z10pnpoly_optILi8EEvPiPK15HIP_vector_typeIfLj2EES4_i
    .private_segment_fixed_size: 0
    .sgpr_count:     22
    .sgpr_spill_count: 0
    .symbol:         _Z10pnpoly_optILi8EEvPiPK15HIP_vector_typeIfLj2EES4_i.kd
    .uniform_work_group_size: 1
    .uses_dynamic_stack: false
    .vgpr_count:     33
    .vgpr_spill_count: 0
    .wavefront_size: 32
  - .args:
      - .actual_access:  write_only
        .address_space:  global
        .offset:         0
        .size:           8
        .value_kind:     global_buffer
      - .actual_access:  read_only
        .address_space:  global
        .offset:         8
        .size:           8
        .value_kind:     global_buffer
      - .actual_access:  read_only
        .address_space:  global
        .offset:         16
        .size:           8
        .value_kind:     global_buffer
      - .offset:         24
        .size:           4
        .value_kind:     by_value
    .group_segment_fixed_size: 0
    .kernarg_segment_align: 8
    .kernarg_segment_size: 28
    .language:       OpenCL C
    .language_version:
      - 2
      - 0
    .max_flat_workgroup_size: 1024
    .name:           _Z10pnpoly_optILi16EEvPiPK15HIP_vector_typeIfLj2EES4_i
    .private_segment_fixed_size: 0
    .sgpr_count:     30
    .sgpr_spill_count: 0
    .symbol:         _Z10pnpoly_optILi16EEvPiPK15HIP_vector_typeIfLj2EES4_i.kd
    .uniform_work_group_size: 1
    .uses_dynamic_stack: false
    .vgpr_count:     57
    .vgpr_spill_count: 0
    .wavefront_size: 32
  - .args:
      - .actual_access:  write_only
        .address_space:  global
        .offset:         0
        .size:           8
        .value_kind:     global_buffer
      - .actual_access:  read_only
        .address_space:  global
        .offset:         8
        .size:           8
        .value_kind:     global_buffer
      - .actual_access:  read_only
        .address_space:  global
        .offset:         16
        .size:           8
        .value_kind:     global_buffer
      - .offset:         24
        .size:           4
        .value_kind:     by_value
    .group_segment_fixed_size: 0
    .kernarg_segment_align: 8
    .kernarg_segment_size: 28
    .language:       OpenCL C
    .language_version:
      - 2
      - 0
    .max_flat_workgroup_size: 1024
    .name:           _Z10pnpoly_optILi32EEvPiPK15HIP_vector_typeIfLj2EES4_i
    .private_segment_fixed_size: 0
    .sgpr_count:     46
    .sgpr_spill_count: 0
    .symbol:         _Z10pnpoly_optILi32EEvPiPK15HIP_vector_typeIfLj2EES4_i.kd
    .uniform_work_group_size: 1
    .uses_dynamic_stack: false
    .vgpr_count:     105
    .vgpr_spill_count: 0
    .wavefront_size: 32
  - .args:
      - .actual_access:  write_only
        .address_space:  global
        .offset:         0
        .size:           8
        .value_kind:     global_buffer
      - .actual_access:  read_only
        .address_space:  global
        .offset:         8
        .size:           8
        .value_kind:     global_buffer
      - .actual_access:  read_only
        .address_space:  global
        .offset:         16
        .size:           8
        .value_kind:     global_buffer
      - .offset:         24
        .size:           4
        .value_kind:     by_value
    .group_segment_fixed_size: 0
    .kernarg_segment_align: 8
    .kernarg_segment_size: 28
    .language:       OpenCL C
    .language_version:
      - 2
      - 0
    .max_flat_workgroup_size: 1024
    .name:           _Z10pnpoly_optILi64EEvPiPK15HIP_vector_typeIfLj2EES4_i
    .private_segment_fixed_size: 296
    .sgpr_count:     77
    .sgpr_spill_count: 0
    .symbol:         _Z10pnpoly_optILi64EEvPiPK15HIP_vector_typeIfLj2EES4_i.kd
    .uniform_work_group_size: 1
    .uses_dynamic_stack: false
    .vgpr_count:     128
    .vgpr_spill_count: 142
    .wavefront_size: 32
amdhsa.target:   amdgcn-amd-amdhsa--gfx1250
amdhsa.version:
  - 1
  - 2
...

	.end_amdgpu_metadata
